;; amdgpu-corpus repo=ROCm/rocFFT kind=compiled arch=gfx1201 opt=O3
	.text
	.amdgcn_target "amdgcn-amd-amdhsa--gfx1201"
	.amdhsa_code_object_version 6
	.protected	bluestein_single_back_len867_dim1_dp_op_CI_CI ; -- Begin function bluestein_single_back_len867_dim1_dp_op_CI_CI
	.globl	bluestein_single_back_len867_dim1_dp_op_CI_CI
	.p2align	8
	.type	bluestein_single_back_len867_dim1_dp_op_CI_CI,@function
bluestein_single_back_len867_dim1_dp_op_CI_CI: ; @bluestein_single_back_len867_dim1_dp_op_CI_CI
; %bb.0:
	s_load_b128 s[12:15], s[0:1], 0x28
	v_mul_u32_u24_e32 v1, 0x506, v0
	s_mov_b32 s2, exec_lo
	v_mov_b32_e32 v5, 0
	s_delay_alu instid0(VALU_DEP_2) | instskip(NEXT) | instid1(VALU_DEP_1)
	v_lshrrev_b32_e32 v1, 16, v1
	v_add_nc_u32_e32 v4, ttmp9, v1
	s_wait_kmcnt 0x0
	s_delay_alu instid0(VALU_DEP_1)
	v_cmpx_gt_u64_e64 s[12:13], v[4:5]
	s_cbranch_execz .LBB0_10
; %bb.1:
	s_clause 0x1
	s_load_b128 s[4:7], s[0:1], 0x18
	s_load_b128 s[8:11], s[0:1], 0x0
	v_mul_lo_u16 v1, v1, 51
	v_mov_b32_e32 v5, v4
	s_mov_b32 s34, 0x5d8e7cdc
	s_mov_b32 s40, 0x2a9d6da3
	;; [unrolled: 1-line block ×3, first 2 shown]
	v_sub_nc_u16 v243, v0, v1
	s_mov_b32 s38, 0xeb564b22
	s_mov_b32 s26, 0x923c349f
	;; [unrolled: 1-line block ×4, first 2 shown]
	v_and_b32_e32 v7, 0xffff, v243
	scratch_store_b64 off, v[5:6], off offset:20 ; 8-byte Folded Spill
	s_mov_b32 s36, 0xacd6c6b4
	s_mov_b32 s35, 0xbfd71e95
	;; [unrolled: 1-line block ×3, first 2 shown]
	scratch_store_b32 off, v7, off          ; 4-byte Folded Spill
	v_lshlrev_b32_e32 v255, 4, v7
	s_mov_b32 s43, 0xbfeca52d
	s_wait_kmcnt 0x0
	s_load_b128 s[16:19], s[4:5], 0x0
	s_mov_b32 s39, 0xbfefdd0d
	s_mov_b32 s27, 0xbfeec746
	;; [unrolled: 1-line block ×19, first 2 shown]
	s_wait_kmcnt 0x0
	v_mad_co_u64_u32 v[0:1], null, s18, v4, 0
	v_mad_co_u64_u32 v[2:3], null, s16, v7, 0
	s_mul_u64 s[2:3], s[16:17], 0x330
	s_mov_b32 s47, 0x3fd71e95
	s_mov_b32 s46, s34
	s_mov_b32 s59, 0x3fc7851a
	s_mov_b32 s58, s36
	s_mov_b32 s49, 0x3fe58eea
	s_delay_alu instid0(VALU_DEP_1)
	v_mad_co_u64_u32 v[4:5], null, s19, v4, v[1:2]
	s_mov_b32 s18, 0x3259b75e
	s_mov_b32 s19, 0x3fb79ee6
	;; [unrolled: 1-line block ×6, first 2 shown]
	s_delay_alu instid0(VALU_DEP_1) | instskip(SKIP_4) | instid1(VALU_DEP_1)
	v_mad_co_u64_u32 v[5:6], null, s17, v7, v[3:4]
	v_mov_b32_e32 v1, v4
	s_mov_b32 s16, 0xc61f0d01
	s_mov_b32 s17, 0xbfd183b1
	;; [unrolled: 1-line block ×3, first 2 shown]
	v_lshlrev_b64_e32 v[0:1], 4, v[0:1]
	s_delay_alu instid0(VALU_DEP_3) | instskip(NEXT) | instid1(VALU_DEP_2)
	v_mov_b32_e32 v3, v5
	v_add_co_u32 v0, vcc_lo, s14, v0
	s_delay_alu instid0(VALU_DEP_2) | instskip(NEXT) | instid1(VALU_DEP_4)
	v_lshlrev_b64_e32 v[2:3], 4, v[2:3]
	v_add_co_ci_u32_e32 v1, vcc_lo, s15, v1, vcc_lo
	s_mov_b32 s14, 0x6ed5f1bb
	s_mov_b32 s15, 0xbfe348c8
	s_delay_alu instid0(VALU_DEP_2) | instskip(SKIP_2) | instid1(VALU_DEP_2)
	v_add_co_u32 v0, vcc_lo, v0, v2
	s_wait_alu 0xfffd
	v_add_co_ci_u32_e32 v1, vcc_lo, v1, v3, vcc_lo
	v_add_co_u32 v8, vcc_lo, v0, s2
	s_wait_alu 0xfffd
	s_delay_alu instid0(VALU_DEP_2)
	v_add_co_ci_u32_e32 v9, vcc_lo, s3, v1, vcc_lo
	global_load_b128 v[0:3], v[0:1], off
	s_clause 0x1
	global_load_b128 v[22:25], v255, s[8:9]
	global_load_b128 v[26:29], v255, s[8:9] offset:816
	global_load_b128 v[4:7], v[8:9], off
	v_add_co_u32 v12, vcc_lo, v8, s2
	s_wait_alu 0xfffd
	v_add_co_ci_u32_e32 v13, vcc_lo, s3, v9, vcc_lo
	global_load_b128 v[30:33], v255, s[8:9] offset:1632
	global_load_b128 v[8:11], v[12:13], off
	v_add_co_u32 v12, vcc_lo, v12, s2
	s_wait_alu 0xfffd
	v_add_co_ci_u32_e32 v13, vcc_lo, s3, v13, vcc_lo
	s_wait_loadcnt 0x4
	v_mul_f64_e32 v[14:15], v[2:3], v[24:25]
	v_mul_f64_e32 v[16:17], v[0:1], v[24:25]
	s_wait_loadcnt 0x2
	v_mul_f64_e32 v[18:19], v[6:7], v[28:29]
	v_mul_f64_e32 v[20:21], v[4:5], v[28:29]
	s_clause 0x1
	scratch_store_b128 off, v[22:25], off offset:28
	scratch_store_b128 off, v[26:29], off offset:44
	v_fma_f64 v[68:69], v[0:1], v[22:23], v[14:15]
	v_fma_f64 v[70:71], v[2:3], v[22:23], -v[16:17]
	global_load_b128 v[14:17], v255, s[8:9] offset:2448
	global_load_b128 v[0:3], v[12:13], off
	v_fma_f64 v[72:73], v[4:5], v[26:27], v[18:19]
	s_wait_loadcnt 0x2
	v_mul_f64_e32 v[4:5], v[10:11], v[32:33]
	v_fma_f64 v[74:75], v[6:7], v[26:27], -v[20:21]
	v_mul_f64_e32 v[6:7], v[8:9], v[32:33]
	scratch_store_b128 off, v[30:33], off offset:60 ; 16-byte Folded Spill
	v_fma_f64 v[76:77], v[8:9], v[30:31], v[4:5]
	v_fma_f64 v[78:79], v[10:11], v[30:31], -v[6:7]
	s_wait_loadcnt 0x1
	scratch_store_b128 off, v[14:17], off offset:76 ; 16-byte Folded Spill
	s_wait_loadcnt 0x0
	v_mul_f64_e32 v[4:5], v[2:3], v[16:17]
	v_mul_f64_e32 v[6:7], v[0:1], v[16:17]
	s_delay_alu instid0(VALU_DEP_2) | instskip(SKIP_3) | instid1(VALU_DEP_4)
	v_fma_f64 v[80:81], v[0:1], v[14:15], v[4:5]
	v_add_co_u32 v4, vcc_lo, v12, s2
	s_wait_alu 0xfffd
	v_add_co_ci_u32_e32 v5, vcc_lo, s3, v13, vcc_lo
	v_fma_f64 v[82:83], v[2:3], v[14:15], -v[6:7]
	global_load_b128 v[0:3], v[4:5], off
	s_clause 0x1
	global_load_b128 v[10:13], v255, s[8:9] offset:3264
	global_load_b128 v[14:17], v255, s[8:9] offset:4080
	v_add_co_u32 v4, vcc_lo, v4, s2
	s_wait_alu 0xfffd
	v_add_co_ci_u32_e32 v5, vcc_lo, s3, v5, vcc_lo
	s_wait_loadcnt 0x1
	v_mul_f64_e32 v[6:7], v[2:3], v[12:13]
	v_mul_f64_e32 v[8:9], v[0:1], v[12:13]
	scratch_store_b128 off, v[10:13], off offset:92 ; 16-byte Folded Spill
	s_wait_loadcnt 0x0
	scratch_store_b128 off, v[14:17], off offset:124 ; 16-byte Folded Spill
	v_fma_f64 v[84:85], v[0:1], v[10:11], v[6:7]
	v_fma_f64 v[86:87], v[2:3], v[10:11], -v[8:9]
	global_load_b128 v[0:3], v[4:5], off
	v_add_co_u32 v4, vcc_lo, v4, s2
	s_wait_alu 0xfffd
	v_add_co_ci_u32_e32 v5, vcc_lo, s3, v5, vcc_lo
	s_wait_loadcnt 0x0
	v_mul_f64_e32 v[6:7], v[2:3], v[16:17]
	v_mul_f64_e32 v[8:9], v[0:1], v[16:17]
	s_delay_alu instid0(VALU_DEP_2) | instskip(NEXT) | instid1(VALU_DEP_2)
	v_fma_f64 v[88:89], v[0:1], v[14:15], v[6:7]
	v_fma_f64 v[90:91], v[2:3], v[14:15], -v[8:9]
	global_load_b128 v[0:3], v[4:5], off
	s_clause 0x1
	global_load_b128 v[10:13], v255, s[8:9] offset:4896
	global_load_b128 v[14:17], v255, s[8:9] offset:5712
	s_wait_loadcnt 0x1
	v_mul_f64_e32 v[8:9], v[0:1], v[12:13]
	v_mul_f64_e32 v[6:7], v[2:3], v[12:13]
	scratch_store_b128 off, v[10:13], off offset:108 ; 16-byte Folded Spill
	s_wait_loadcnt 0x0
	scratch_store_b128 off, v[14:17], off offset:140 ; 16-byte Folded Spill
	v_fma_f64 v[2:3], v[2:3], v[10:11], -v[8:9]
	v_add_co_u32 v8, vcc_lo, v4, s2
	s_wait_alu 0xfffd
	v_add_co_ci_u32_e32 v9, vcc_lo, s3, v5, vcc_lo
	v_fma_f64 v[0:1], v[0:1], v[10:11], v[6:7]
	global_load_b128 v[4:7], v[8:9], off
	s_wait_loadcnt 0x0
	v_mul_f64_e32 v[12:13], v[4:5], v[16:17]
	v_mul_f64_e32 v[10:11], v[6:7], v[16:17]
	s_delay_alu instid0(VALU_DEP_2) | instskip(SKIP_3) | instid1(VALU_DEP_4)
	v_fma_f64 v[6:7], v[6:7], v[14:15], -v[12:13]
	v_add_co_u32 v12, vcc_lo, v8, s2
	s_wait_alu 0xfffd
	v_add_co_ci_u32_e32 v13, vcc_lo, s3, v9, vcc_lo
	v_fma_f64 v[4:5], v[4:5], v[14:15], v[10:11]
	global_load_b128 v[8:11], v[12:13], off
	s_clause 0x1
	global_load_b128 v[18:21], v255, s[8:9] offset:6528
	global_load_b128 v[22:25], v255, s[8:9] offset:7344
	s_wait_loadcnt 0x1
	v_mul_f64_e32 v[16:17], v[8:9], v[20:21]
	v_mul_f64_e32 v[14:15], v[10:11], v[20:21]
	scratch_store_b128 off, v[18:21], off offset:156 ; 16-byte Folded Spill
	s_wait_loadcnt 0x0
	scratch_store_b128 off, v[22:25], off offset:172 ; 16-byte Folded Spill
	v_fma_f64 v[10:11], v[10:11], v[18:19], -v[16:17]
	v_add_co_u32 v16, vcc_lo, v12, s2
	s_wait_alu 0xfffd
	v_add_co_ci_u32_e32 v17, vcc_lo, s3, v13, vcc_lo
	v_fma_f64 v[8:9], v[8:9], v[18:19], v[14:15]
	global_load_b128 v[12:15], v[16:17], off
	s_wait_loadcnt 0x0
	v_mul_f64_e32 v[20:21], v[12:13], v[24:25]
	v_mul_f64_e32 v[18:19], v[14:15], v[24:25]
	s_delay_alu instid0(VALU_DEP_2) | instskip(SKIP_3) | instid1(VALU_DEP_4)
	v_fma_f64 v[14:15], v[14:15], v[22:23], -v[20:21]
	v_add_co_u32 v20, vcc_lo, v16, s2
	s_wait_alu 0xfffd
	v_add_co_ci_u32_e32 v21, vcc_lo, s3, v17, vcc_lo
	v_fma_f64 v[12:13], v[12:13], v[22:23], v[18:19]
	;; [unrolled: 25-line block ×4, first 2 shown]
	global_load_b128 v[32:35], v[36:37], off
	s_clause 0x1
	global_load_b128 v[42:45], v255, s[8:9] offset:11424
	global_load_b128 v[46:49], v255, s[8:9] offset:12240
	s_wait_loadcnt 0x1
	v_mul_f64_e32 v[40:41], v[32:33], v[44:45]
	v_mul_f64_e32 v[38:39], v[34:35], v[44:45]
	scratch_store_b128 off, v[42:45], off offset:252 ; 16-byte Folded Spill
	s_wait_loadcnt 0x0
	scratch_store_b128 off, v[46:49], off offset:268 ; 16-byte Folded Spill
	v_fma_f64 v[34:35], v[34:35], v[42:43], -v[40:41]
	v_add_co_u32 v40, vcc_lo, v36, s2
	s_wait_alu 0xfffd
	v_add_co_ci_u32_e32 v41, vcc_lo, s3, v37, vcc_lo
	v_fma_f64 v[32:33], v[32:33], v[42:43], v[38:39]
	global_load_b128 v[36:39], v[40:41], off
	v_add_co_u32 v40, vcc_lo, v40, s2
	s_wait_alu 0xfffd
	v_add_co_ci_u32_e32 v41, vcc_lo, s3, v41, vcc_lo
	s_mov_b32 s2, 0x7faef3
	s_mov_b32 s3, 0xbfef7484
	v_cmp_gt_u16_e64 vcc_lo, 34, v243
	s_wait_loadcnt 0x0
	v_mul_f64_e32 v[42:43], v[38:39], v[48:49]
	v_mul_f64_e32 v[44:45], v[36:37], v[48:49]
	s_delay_alu instid0(VALU_DEP_2)
	v_fma_f64 v[36:37], v[36:37], v[46:47], v[42:43]
	global_load_b128 v[40:43], v[40:41], off
	global_load_b128 v[48:51], v255, s[8:9] offset:13056
	v_fma_f64 v[38:39], v[38:39], v[46:47], -v[44:45]
	s_wait_loadcnt 0x0
	v_mul_f64_e32 v[44:45], v[42:43], v[50:51]
	v_mul_f64_e32 v[46:47], v[40:41], v[50:51]
	scratch_store_b128 off, v[48:51], off offset:284 ; 16-byte Folded Spill
	v_fma_f64 v[40:41], v[40:41], v[48:49], v[44:45]
	v_fma_f64 v[42:43], v[42:43], v[48:49], -v[46:47]
	ds_store_b128 v255, v[68:71]
	ds_store_b128 v255, v[72:75] offset:816
	ds_store_b128 v255, v[76:79] offset:1632
	;; [unrolled: 1-line block ×16, first 2 shown]
	s_load_b128 s[4:7], s[6:7], 0x0
	global_wb scope:SCOPE_SE
	s_wait_storecnt_dscnt 0x0
	s_wait_kmcnt 0x0
	s_barrier_signal -1
	s_barrier_wait -1
	global_inv scope:SCOPE_SE
	ds_load_b128 v[68:71], v255
	ds_load_b128 v[72:75], v255 offset:816
	ds_load_b128 v[76:79], v255 offset:1632
	;; [unrolled: 1-line block ×11, first 2 shown]
	s_wait_dscnt 0xa
	v_add_f64_e32 v[0:1], v[68:69], v[72:73]
	v_add_f64_e32 v[2:3], v[70:71], v[74:75]
	s_wait_dscnt 0x2
	v_add_f64_e64 v[12:13], v[100:101], -v[104:105]
	v_add_f64_e64 v[14:15], v[102:103], -v[106:107]
	s_wait_dscnt 0x1
	v_add_f64_e64 v[20:21], v[96:97], -v[8:9]
	v_add_f64_e64 v[22:23], v[98:99], -v[10:11]
	;; [unrolled: 3-line block ×3, first 2 shown]
	v_add_f64_e32 v[0:1], v[0:1], v[76:77]
	v_add_f64_e32 v[2:3], v[2:3], v[78:79]
	s_delay_alu instid0(VALU_DEP_2) | instskip(NEXT) | instid1(VALU_DEP_2)
	v_add_f64_e32 v[0:1], v[0:1], v[80:81]
	v_add_f64_e32 v[2:3], v[2:3], v[82:83]
	s_delay_alu instid0(VALU_DEP_2) | instskip(NEXT) | instid1(VALU_DEP_2)
	;; [unrolled: 3-line block ×6, first 2 shown]
	v_add_f64_e32 v[4:5], v[0:1], v[100:101]
	v_add_f64_e32 v[6:7], v[2:3], v[102:103]
	v_add_f64_e32 v[0:1], v[100:101], v[104:105]
	v_add_f64_e32 v[2:3], v[102:103], v[106:107]
	s_delay_alu instid0(VALU_DEP_4) | instskip(NEXT) | instid1(VALU_DEP_4)
	v_add_f64_e32 v[24:25], v[4:5], v[104:105]
	v_add_f64_e32 v[26:27], v[6:7], v[106:107]
	v_add_f64_e32 v[4:5], v[96:97], v[8:9]
	v_add_f64_e32 v[6:7], v[98:99], v[10:11]
	s_delay_alu instid0(VALU_DEP_4) | instskip(NEXT) | instid1(VALU_DEP_4)
	;; [unrolled: 5-line block ×3, first 2 shown]
	v_add_f64_e32 v[36:37], v[24:25], v[16:17]
	v_add_f64_e32 v[38:39], v[26:27], v[18:19]
	ds_load_b128 v[24:27], v255 offset:9792
	ds_load_b128 v[32:35], v255 offset:10608
	s_wait_dscnt 0x1
	v_add_f64_e32 v[16:17], v[88:89], v[24:25]
	v_add_f64_e32 v[18:19], v[90:91], v[26:27]
	v_add_f64_e64 v[40:41], v[88:89], -v[24:25]
	v_add_f64_e64 v[42:43], v[90:91], -v[26:27]
	s_wait_dscnt 0x0
	v_add_f64_e64 v[44:45], v[84:85], -v[32:33]
	v_add_f64_e64 v[46:47], v[86:87], -v[34:35]
	v_add_f64_e32 v[36:37], v[36:37], v[24:25]
	v_add_f64_e32 v[38:39], v[38:39], v[26:27]
	;; [unrolled: 1-line block ×4, first 2 shown]
	s_delay_alu instid0(VALU_DEP_4) | instskip(NEXT) | instid1(VALU_DEP_4)
	v_add_f64_e32 v[52:53], v[36:37], v[32:33]
	v_add_f64_e32 v[54:55], v[38:39], v[34:35]
	ds_load_b128 v[36:39], v255 offset:11424
	ds_load_b128 v[48:51], v255 offset:12240
	s_wait_dscnt 0x1
	v_add_f64_e32 v[32:33], v[80:81], v[36:37]
	v_add_f64_e32 v[34:35], v[82:83], v[38:39]
	v_add_f64_e64 v[96:97], v[80:81], -v[36:37]
	v_add_f64_e64 v[98:99], v[82:83], -v[38:39]
	s_wait_dscnt 0x0
	v_add_f64_e64 v[100:101], v[76:77], -v[48:49]
	v_add_f64_e64 v[102:103], v[78:79], -v[50:51]
	v_add_f64_e32 v[52:53], v[52:53], v[36:37]
	v_add_f64_e32 v[54:55], v[54:55], v[38:39]
	;; [unrolled: 1-line block ×4, first 2 shown]
	s_delay_alu instid0(VALU_DEP_4) | instskip(NEXT) | instid1(VALU_DEP_4)
	v_add_f64_e32 v[52:53], v[52:53], v[48:49]
	v_add_f64_e32 v[54:55], v[54:55], v[50:51]
	ds_load_b128 v[48:51], v255 offset:13056
	global_wb scope:SCOPE_SE
	s_wait_dscnt 0x0
	s_barrier_signal -1
	s_barrier_wait -1
	global_inv scope:SCOPE_SE
	v_add_f64_e64 v[56:57], v[74:75], -v[50:51]
	v_add_f64_e32 v[58:59], v[72:73], v[48:49]
	v_add_f64_e32 v[60:61], v[74:75], v[50:51]
	v_add_f64_e64 v[62:63], v[72:73], -v[48:49]
	v_add_f64_e32 v[72:73], v[52:53], v[48:49]
	v_add_f64_e32 v[74:75], v[54:55], v[50:51]
	v_mul_f64_e32 v[48:49], s[34:35], v[56:57]
	v_mul_f64_e32 v[50:51], s[40:41], v[56:57]
	;; [unrolled: 1-line block ×11, first 2 shown]
	v_fma_f64 v[78:79], v[58:59], s[24:25], -v[48:49]
	v_fma_f64 v[48:49], v[58:59], s[24:25], v[48:49]
	v_fma_f64 v[80:81], v[58:59], s[22:23], -v[50:51]
	v_fma_f64 v[82:83], v[58:59], s[22:23], v[50:51]
	;; [unrolled: 2-line block ×3, first 2 shown]
	v_fma_f64 v[88:89], v[58:59], s[18:19], -v[54:55]
	v_fma_f64 v[132:133], v[58:59], s[2:3], -v[56:57]
	v_fma_f64 v[134:135], v[58:59], s[2:3], v[56:57]
	v_mul_f64_e32 v[56:57], s[40:41], v[62:63]
	v_fma_f64 v[54:55], v[58:59], s[18:19], v[54:55]
	v_fma_f64 v[108:109], v[58:59], s[16:17], -v[64:65]
	v_fma_f64 v[64:65], v[58:59], s[16:17], v[64:65]
	v_fma_f64 v[110:111], v[58:59], s[14:15], -v[66:67]
	;; [unrolled: 2-line block ×3, first 2 shown]
	v_fma_f64 v[130:131], v[58:59], s[12:13], v[76:77]
	v_mul_f64_e32 v[50:51], s[34:35], v[62:63]
	v_mul_f64_e32 v[58:59], s[42:43], v[62:63]
	;; [unrolled: 1-line block ×4, first 2 shown]
	v_fma_f64 v[136:137], v[60:61], s[16:17], v[86:87]
	v_fma_f64 v[138:139], v[60:61], s[16:17], -v[86:87]
	v_fma_f64 v[140:141], v[60:61], s[14:15], v[90:91]
	v_fma_f64 v[142:143], v[60:61], s[14:15], -v[90:91]
	;; [unrolled: 2-line block ×3, first 2 shown]
	v_add_f64_e32 v[104:105], v[68:69], v[78:79]
	v_add_f64_e32 v[126:127], v[68:69], v[80:81]
	;; [unrolled: 1-line block ×6, first 2 shown]
	v_fma_f64 v[114:115], v[60:61], s[22:23], v[56:57]
	v_fma_f64 v[56:57], v[60:61], s[22:23], -v[56:57]
	v_add_f64_e32 v[122:123], v[68:69], v[108:109]
	v_fma_f64 v[94:95], v[60:61], s[24:25], v[50:51]
	v_fma_f64 v[116:117], v[60:61], s[20:21], v[58:59]
	v_fma_f64 v[58:59], v[60:61], s[20:21], -v[58:59]
	v_fma_f64 v[118:119], v[60:61], s[18:19], v[76:77]
	v_fma_f64 v[112:113], v[60:61], s[24:25], -v[50:51]
	;; [unrolled: 2-line block ×3, first 2 shown]
	v_add_f64_e32 v[50:51], v[68:69], v[48:49]
	v_add_f64_e32 v[62:63], v[68:69], v[130:131]
	v_fma_f64 v[120:121], v[60:61], s[18:19], -v[76:77]
	v_add_f64_e32 v[108:109], v[70:71], v[142:143]
	v_add_f64_e32 v[60:61], v[70:71], v[146:147]
	;; [unrolled: 1-line block ×6, first 2 shown]
	v_mul_f64_e32 v[128:129], s[38:39], v[102:103]
	v_add_f64_e32 v[76:77], v[70:71], v[56:57]
	v_add_f64_e32 v[106:107], v[70:71], v[94:95]
	;; [unrolled: 1-line block ×17, first 2 shown]
	v_fma_f64 v[68:69], v[36:37], s[18:19], -v[128:129]
	v_fma_f64 v[128:129], v[36:37], s[18:19], v[128:129]
	s_delay_alu instid0(VALU_DEP_2) | instskip(SKIP_1) | instid1(VALU_DEP_3)
	v_add_f64_e32 v[68:69], v[68:69], v[126:127]
	v_mul_f64_e32 v[126:127], s[38:39], v[100:101]
	v_add_f64_e32 v[78:79], v[128:129], v[78:79]
	s_delay_alu instid0(VALU_DEP_2) | instskip(SKIP_1) | instid1(VALU_DEP_2)
	v_fma_f64 v[70:71], v[38:39], s[18:19], v[126:127]
	v_fma_f64 v[126:127], v[38:39], s[18:19], -v[126:127]
	v_add_f64_e32 v[70:71], v[70:71], v[124:125]
	v_mul_f64_e32 v[124:125], s[28:29], v[98:99]
	s_delay_alu instid0(VALU_DEP_3) | instskip(NEXT) | instid1(VALU_DEP_2)
	v_add_f64_e32 v[76:77], v[126:127], v[76:77]
	v_fma_f64 v[130:131], v[32:33], s[14:15], -v[124:125]
	v_fma_f64 v[124:125], v[32:33], s[14:15], v[124:125]
	s_delay_alu instid0(VALU_DEP_2) | instskip(SKIP_1) | instid1(VALU_DEP_3)
	v_add_f64_e32 v[68:69], v[130:131], v[68:69]
	v_mul_f64_e32 v[130:131], s[28:29], v[96:97]
	v_add_f64_e32 v[78:79], v[124:125], v[78:79]
	s_delay_alu instid0(VALU_DEP_2) | instskip(SKIP_1) | instid1(VALU_DEP_2)
	v_fma_f64 v[132:133], v[34:35], s[14:15], v[130:131]
	v_fma_f64 v[124:125], v[34:35], s[14:15], -v[130:131]
	v_add_f64_e32 v[70:71], v[132:133], v[70:71]
	v_mul_f64_e32 v[132:133], s[36:37], v[46:47]
	s_delay_alu instid0(VALU_DEP_3) | instskip(NEXT) | instid1(VALU_DEP_2)
	v_add_f64_e32 v[76:77], v[124:125], v[76:77]
	;; [unrolled: 13-line block ×6, first 2 shown]
	v_fma_f64 v[150:151], v[0:1], s[24:25], -v[148:149]
	v_fma_f64 v[76:77], v[0:1], s[24:25], v[148:149]
	s_delay_alu instid0(VALU_DEP_2) | instskip(SKIP_1) | instid1(VALU_DEP_3)
	v_add_f64_e32 v[68:69], v[150:151], v[68:69]
	v_mul_f64_e32 v[150:151], s[46:47], v[12:13]
	v_add_f64_e32 v[76:77], v[76:77], v[78:79]
	s_delay_alu instid0(VALU_DEP_2) | instskip(SKIP_2) | instid1(VALU_DEP_3)
	v_fma_f64 v[126:127], v[2:3], s[24:25], -v[150:151]
	v_fma_f64 v[152:153], v[2:3], s[24:25], v[150:151]
	v_mul_f64_e32 v[150:151], s[30:31], v[14:15]
	v_add_f64_e32 v[78:79], v[126:127], v[124:125]
	v_mul_f64_e32 v[124:125], s[28:29], v[102:103]
	s_delay_alu instid0(VALU_DEP_4) | instskip(SKIP_1) | instid1(VALU_DEP_3)
	v_add_f64_e32 v[70:71], v[152:153], v[70:71]
	v_mul_f64_e32 v[152:153], s[30:31], v[12:13]
	v_fma_f64 v[126:127], v[36:37], s[14:15], -v[124:125]
	v_fma_f64 v[124:125], v[36:37], s[14:15], v[124:125]
	s_delay_alu instid0(VALU_DEP_2) | instskip(SKIP_1) | instid1(VALU_DEP_3)
	v_add_f64_e32 v[82:83], v[126:127], v[82:83]
	v_mul_f64_e32 v[126:127], s[28:29], v[100:101]
	v_add_f64_e32 v[86:87], v[124:125], v[86:87]
	s_delay_alu instid0(VALU_DEP_2) | instskip(SKIP_2) | instid1(VALU_DEP_3)
	v_fma_f64 v[128:129], v[38:39], s[14:15], v[126:127]
	v_fma_f64 v[124:125], v[38:39], s[14:15], -v[126:127]
	v_fma_f64 v[126:127], v[2:3], s[12:13], -v[152:153]
	v_add_f64_e32 v[80:81], v[128:129], v[80:81]
	v_mul_f64_e32 v[128:129], s[58:59], v[98:99]
	s_delay_alu instid0(VALU_DEP_4) | instskip(NEXT) | instid1(VALU_DEP_2)
	v_add_f64_e32 v[84:85], v[124:125], v[84:85]
	v_fma_f64 v[130:131], v[32:33], s[2:3], -v[128:129]
	v_fma_f64 v[124:125], v[32:33], s[2:3], v[128:129]
	s_delay_alu instid0(VALU_DEP_2) | instskip(SKIP_1) | instid1(VALU_DEP_3)
	v_add_f64_e32 v[82:83], v[130:131], v[82:83]
	v_mul_f64_e32 v[130:131], s[58:59], v[96:97]
	v_add_f64_e32 v[86:87], v[124:125], v[86:87]
	s_delay_alu instid0(VALU_DEP_2) | instskip(SKIP_1) | instid1(VALU_DEP_2)
	v_fma_f64 v[132:133], v[34:35], s[2:3], v[130:131]
	v_fma_f64 v[124:125], v[34:35], s[2:3], -v[130:131]
	v_add_f64_e32 v[80:81], v[132:133], v[80:81]
	v_mul_f64_e32 v[132:133], s[52:53], v[46:47]
	s_delay_alu instid0(VALU_DEP_3) | instskip(NEXT) | instid1(VALU_DEP_2)
	v_add_f64_e32 v[84:85], v[124:125], v[84:85]
	v_fma_f64 v[134:135], v[24:25], s[16:17], -v[132:133]
	v_fma_f64 v[124:125], v[24:25], s[16:17], v[132:133]
	s_delay_alu instid0(VALU_DEP_2) | instskip(SKIP_1) | instid1(VALU_DEP_3)
	v_add_f64_e32 v[82:83], v[134:135], v[82:83]
	v_mul_f64_e32 v[134:135], s[52:53], v[44:45]
	v_add_f64_e32 v[86:87], v[124:125], v[86:87]
	s_delay_alu instid0(VALU_DEP_2) | instskip(SKIP_1) | instid1(VALU_DEP_2)
	v_fma_f64 v[136:137], v[26:27], s[16:17], v[134:135]
	v_fma_f64 v[124:125], v[26:27], s[16:17], -v[134:135]
	v_add_f64_e32 v[80:81], v[136:137], v[80:81]
	v_mul_f64_e32 v[136:137], s[48:49], v[42:43]
	s_delay_alu instid0(VALU_DEP_3) | instskip(NEXT) | instid1(VALU_DEP_2)
	;; [unrolled: 13-line block ×4, first 2 shown]
	v_add_f64_e32 v[84:85], v[124:125], v[84:85]
	v_fma_f64 v[146:147], v[4:5], s[18:19], -v[144:145]
	v_fma_f64 v[124:125], v[4:5], s[18:19], v[144:145]
	s_delay_alu instid0(VALU_DEP_2) | instskip(SKIP_1) | instid1(VALU_DEP_3)
	v_add_f64_e32 v[82:83], v[146:147], v[82:83]
	v_mul_f64_e32 v[146:147], s[38:39], v[20:21]
	v_add_f64_e32 v[86:87], v[124:125], v[86:87]
	s_delay_alu instid0(VALU_DEP_2) | instskip(SKIP_1) | instid1(VALU_DEP_2)
	v_fma_f64 v[124:125], v[6:7], s[18:19], -v[146:147]
	v_fma_f64 v[148:149], v[6:7], s[18:19], v[146:147]
	v_add_f64_e32 v[124:125], v[124:125], v[84:85]
	v_fma_f64 v[84:85], v[0:1], s[12:13], v[150:151]
	s_delay_alu instid0(VALU_DEP_3) | instskip(SKIP_2) | instid1(VALU_DEP_4)
	v_add_f64_e32 v[148:149], v[148:149], v[80:81]
	v_fma_f64 v[80:81], v[0:1], s[12:13], -v[150:151]
	v_mul_f64_e32 v[150:151], s[48:49], v[14:15]
	v_add_f64_e32 v[84:85], v[84:85], v[86:87]
	v_add_f64_e32 v[86:87], v[126:127], v[124:125]
	v_mul_f64_e32 v[124:125], s[36:37], v[102:103]
	v_add_f64_e32 v[80:81], v[80:81], v[82:83]
	v_fma_f64 v[82:83], v[2:3], s[12:13], v[152:153]
	v_mul_f64_e32 v[152:153], s[48:49], v[12:13]
	s_delay_alu instid0(VALU_DEP_4) | instskip(SKIP_1) | instid1(VALU_DEP_4)
	v_fma_f64 v[126:127], v[36:37], s[2:3], -v[124:125]
	v_fma_f64 v[124:125], v[36:37], s[2:3], v[124:125]
	v_add_f64_e32 v[82:83], v[82:83], v[148:149]
	s_delay_alu instid0(VALU_DEP_3) | instskip(SKIP_1) | instid1(VALU_DEP_4)
	v_add_f64_e32 v[90:91], v[126:127], v[90:91]
	v_mul_f64_e32 v[126:127], s[36:37], v[100:101]
	v_add_f64_e32 v[94:95], v[124:125], v[94:95]
	s_delay_alu instid0(VALU_DEP_2) | instskip(SKIP_2) | instid1(VALU_DEP_3)
	v_fma_f64 v[128:129], v[38:39], s[2:3], v[126:127]
	v_fma_f64 v[124:125], v[38:39], s[2:3], -v[126:127]
	v_fma_f64 v[126:127], v[2:3], s[22:23], -v[152:153]
	v_add_f64_e32 v[88:89], v[128:129], v[88:89]
	v_mul_f64_e32 v[128:129], s[52:53], v[98:99]
	s_delay_alu instid0(VALU_DEP_4) | instskip(NEXT) | instid1(VALU_DEP_2)
	v_add_f64_e32 v[92:93], v[124:125], v[92:93]
	v_fma_f64 v[130:131], v[32:33], s[16:17], -v[128:129]
	v_fma_f64 v[124:125], v[32:33], s[16:17], v[128:129]
	s_delay_alu instid0(VALU_DEP_2) | instskip(SKIP_1) | instid1(VALU_DEP_3)
	v_add_f64_e32 v[90:91], v[130:131], v[90:91]
	v_mul_f64_e32 v[130:131], s[52:53], v[96:97]
	v_add_f64_e32 v[94:95], v[124:125], v[94:95]
	s_delay_alu instid0(VALU_DEP_2) | instskip(SKIP_1) | instid1(VALU_DEP_2)
	v_fma_f64 v[132:133], v[34:35], s[16:17], v[130:131]
	v_fma_f64 v[124:125], v[34:35], s[16:17], -v[130:131]
	v_add_f64_e32 v[88:89], v[132:133], v[88:89]
	v_mul_f64_e32 v[132:133], s[46:47], v[46:47]
	s_delay_alu instid0(VALU_DEP_3) | instskip(NEXT) | instid1(VALU_DEP_2)
	v_add_f64_e32 v[92:93], v[124:125], v[92:93]
	v_fma_f64 v[134:135], v[24:25], s[24:25], -v[132:133]
	v_fma_f64 v[124:125], v[24:25], s[24:25], v[132:133]
	s_delay_alu instid0(VALU_DEP_2) | instskip(SKIP_1) | instid1(VALU_DEP_3)
	v_add_f64_e32 v[90:91], v[134:135], v[90:91]
	v_mul_f64_e32 v[134:135], s[46:47], v[44:45]
	v_add_f64_e32 v[94:95], v[124:125], v[94:95]
	s_delay_alu instid0(VALU_DEP_2) | instskip(SKIP_1) | instid1(VALU_DEP_2)
	v_fma_f64 v[136:137], v[26:27], s[24:25], v[134:135]
	v_fma_f64 v[124:125], v[26:27], s[24:25], -v[134:135]
	v_add_f64_e32 v[88:89], v[136:137], v[88:89]
	v_mul_f64_e32 v[136:137], s[42:43], v[42:43]
	s_delay_alu instid0(VALU_DEP_3) | instskip(NEXT) | instid1(VALU_DEP_2)
	;; [unrolled: 13-line block ×4, first 2 shown]
	v_add_f64_e32 v[92:93], v[124:125], v[92:93]
	v_fma_f64 v[146:147], v[4:5], s[14:15], -v[144:145]
	v_fma_f64 v[124:125], v[4:5], s[14:15], v[144:145]
	s_delay_alu instid0(VALU_DEP_2) | instskip(SKIP_1) | instid1(VALU_DEP_3)
	v_add_f64_e32 v[90:91], v[146:147], v[90:91]
	v_mul_f64_e32 v[146:147], s[54:55], v[20:21]
	v_add_f64_e32 v[94:95], v[124:125], v[94:95]
	s_delay_alu instid0(VALU_DEP_2) | instskip(SKIP_1) | instid1(VALU_DEP_2)
	v_fma_f64 v[124:125], v[6:7], s[14:15], -v[146:147]
	v_fma_f64 v[148:149], v[6:7], s[14:15], v[146:147]
	v_add_f64_e32 v[124:125], v[124:125], v[92:93]
	v_fma_f64 v[92:93], v[0:1], s[22:23], v[150:151]
	s_delay_alu instid0(VALU_DEP_3) | instskip(SKIP_2) | instid1(VALU_DEP_4)
	v_add_f64_e32 v[148:149], v[148:149], v[88:89]
	v_fma_f64 v[88:89], v[0:1], s[22:23], -v[150:151]
	v_mul_f64_e32 v[150:151], s[28:29], v[14:15]
	v_add_f64_e32 v[92:93], v[92:93], v[94:95]
	v_add_f64_e32 v[94:95], v[126:127], v[124:125]
	v_mul_f64_e32 v[124:125], s[56:57], v[102:103]
	v_add_f64_e32 v[88:89], v[88:89], v[90:91]
	v_fma_f64 v[90:91], v[2:3], s[22:23], v[152:153]
	v_mul_f64_e32 v[152:153], s[28:29], v[12:13]
	s_delay_alu instid0(VALU_DEP_4) | instskip(SKIP_1) | instid1(VALU_DEP_4)
	v_fma_f64 v[126:127], v[36:37], s[12:13], -v[124:125]
	v_fma_f64 v[124:125], v[36:37], s[12:13], v[124:125]
	v_add_f64_e32 v[90:91], v[90:91], v[148:149]
	s_delay_alu instid0(VALU_DEP_3) | instskip(SKIP_1) | instid1(VALU_DEP_4)
	v_add_f64_e32 v[122:123], v[126:127], v[122:123]
	v_mul_f64_e32 v[126:127], s[56:57], v[100:101]
	v_add_f64_e32 v[118:119], v[124:125], v[118:119]
	s_delay_alu instid0(VALU_DEP_2) | instskip(SKIP_2) | instid1(VALU_DEP_3)
	v_fma_f64 v[128:129], v[38:39], s[12:13], v[126:127]
	v_fma_f64 v[124:125], v[38:39], s[12:13], -v[126:127]
	v_fma_f64 v[126:127], v[2:3], s[14:15], -v[152:153]
	v_add_f64_e32 v[120:121], v[128:129], v[120:121]
	v_mul_f64_e32 v[128:129], s[48:49], v[98:99]
	s_delay_alu instid0(VALU_DEP_4) | instskip(NEXT) | instid1(VALU_DEP_2)
	v_add_f64_e32 v[116:117], v[124:125], v[116:117]
	v_fma_f64 v[130:131], v[32:33], s[22:23], -v[128:129]
	v_fma_f64 v[124:125], v[32:33], s[22:23], v[128:129]
	s_delay_alu instid0(VALU_DEP_2) | instskip(SKIP_1) | instid1(VALU_DEP_3)
	v_add_f64_e32 v[122:123], v[130:131], v[122:123]
	v_mul_f64_e32 v[130:131], s[48:49], v[96:97]
	v_add_f64_e32 v[118:119], v[124:125], v[118:119]
	s_delay_alu instid0(VALU_DEP_2) | instskip(SKIP_1) | instid1(VALU_DEP_2)
	v_fma_f64 v[132:133], v[34:35], s[22:23], v[130:131]
	v_fma_f64 v[124:125], v[34:35], s[22:23], -v[130:131]
	v_add_f64_e32 v[120:121], v[132:133], v[120:121]
	v_mul_f64_e32 v[132:133], s[42:43], v[46:47]
	s_delay_alu instid0(VALU_DEP_3) | instskip(NEXT) | instid1(VALU_DEP_2)
	v_add_f64_e32 v[116:117], v[124:125], v[116:117]
	v_fma_f64 v[134:135], v[24:25], s[20:21], -v[132:133]
	v_fma_f64 v[124:125], v[24:25], s[20:21], v[132:133]
	s_delay_alu instid0(VALU_DEP_2) | instskip(SKIP_1) | instid1(VALU_DEP_3)
	v_add_f64_e32 v[122:123], v[134:135], v[122:123]
	v_mul_f64_e32 v[134:135], s[42:43], v[44:45]
	v_add_f64_e32 v[118:119], v[124:125], v[118:119]
	s_delay_alu instid0(VALU_DEP_2) | instskip(SKIP_1) | instid1(VALU_DEP_2)
	v_fma_f64 v[136:137], v[26:27], s[20:21], v[134:135]
	v_fma_f64 v[124:125], v[26:27], s[20:21], -v[134:135]
	v_add_f64_e32 v[120:121], v[136:137], v[120:121]
	v_mul_f64_e32 v[136:137], s[36:37], v[42:43]
	s_delay_alu instid0(VALU_DEP_3) | instskip(NEXT) | instid1(VALU_DEP_2)
	;; [unrolled: 13-line block ×4, first 2 shown]
	v_add_f64_e32 v[116:117], v[124:125], v[116:117]
	v_fma_f64 v[146:147], v[4:5], s[24:25], -v[144:145]
	v_fma_f64 v[124:125], v[4:5], s[24:25], v[144:145]
	s_delay_alu instid0(VALU_DEP_2) | instskip(SKIP_1) | instid1(VALU_DEP_3)
	v_add_f64_e32 v[122:123], v[146:147], v[122:123]
	v_mul_f64_e32 v[146:147], s[34:35], v[20:21]
	v_add_f64_e32 v[118:119], v[124:125], v[118:119]
	s_delay_alu instid0(VALU_DEP_2) | instskip(SKIP_1) | instid1(VALU_DEP_2)
	v_fma_f64 v[124:125], v[6:7], s[24:25], -v[146:147]
	v_fma_f64 v[148:149], v[6:7], s[24:25], v[146:147]
	v_add_f64_e32 v[124:125], v[124:125], v[116:117]
	v_fma_f64 v[116:117], v[0:1], s[14:15], v[150:151]
	s_delay_alu instid0(VALU_DEP_3) | instskip(SKIP_2) | instid1(VALU_DEP_4)
	v_add_f64_e32 v[148:149], v[148:149], v[120:121]
	v_fma_f64 v[120:121], v[0:1], s[14:15], -v[150:151]
	v_mul_f64_e32 v[150:151], s[44:45], v[14:15]
	v_add_f64_e32 v[116:117], v[116:117], v[118:119]
	v_add_f64_e32 v[118:119], v[126:127], v[124:125]
	v_mul_f64_e32 v[124:125], s[52:53], v[102:103]
	v_add_f64_e32 v[120:121], v[120:121], v[122:123]
	v_fma_f64 v[122:123], v[2:3], s[14:15], v[152:153]
	v_mul_f64_e32 v[152:153], s[44:45], v[12:13]
	s_delay_alu instid0(VALU_DEP_4) | instskip(SKIP_1) | instid1(VALU_DEP_4)
	v_fma_f64 v[126:127], v[36:37], s[16:17], -v[124:125]
	v_fma_f64 v[124:125], v[36:37], s[16:17], v[124:125]
	v_add_f64_e32 v[122:123], v[122:123], v[148:149]
	s_delay_alu instid0(VALU_DEP_3) | instskip(SKIP_1) | instid1(VALU_DEP_4)
	v_add_f64_e32 v[114:115], v[126:127], v[114:115]
	v_mul_f64_e32 v[126:127], s[52:53], v[100:101]
	v_add_f64_e32 v[110:111], v[124:125], v[110:111]
	s_delay_alu instid0(VALU_DEP_2) | instskip(SKIP_2) | instid1(VALU_DEP_3)
	v_fma_f64 v[128:129], v[38:39], s[16:17], v[126:127]
	v_fma_f64 v[124:125], v[38:39], s[16:17], -v[126:127]
	v_fma_f64 v[126:127], v[2:3], s[20:21], -v[152:153]
	v_add_f64_e32 v[112:113], v[128:129], v[112:113]
	v_mul_f64_e32 v[128:129], s[34:35], v[98:99]
	s_delay_alu instid0(VALU_DEP_4) | instskip(NEXT) | instid1(VALU_DEP_2)
	v_add_f64_e32 v[108:109], v[124:125], v[108:109]
	v_fma_f64 v[130:131], v[32:33], s[24:25], -v[128:129]
	v_fma_f64 v[124:125], v[32:33], s[24:25], v[128:129]
	s_delay_alu instid0(VALU_DEP_2) | instskip(SKIP_1) | instid1(VALU_DEP_3)
	v_add_f64_e32 v[114:115], v[130:131], v[114:115]
	v_mul_f64_e32 v[130:131], s[34:35], v[96:97]
	v_add_f64_e32 v[110:111], v[124:125], v[110:111]
	s_delay_alu instid0(VALU_DEP_2) | instskip(SKIP_1) | instid1(VALU_DEP_2)
	v_fma_f64 v[132:133], v[34:35], s[24:25], v[130:131]
	v_fma_f64 v[124:125], v[34:35], s[24:25], -v[130:131]
	v_add_f64_e32 v[112:113], v[132:133], v[112:113]
	v_mul_f64_e32 v[132:133], s[30:31], v[46:47]
	s_delay_alu instid0(VALU_DEP_3) | instskip(NEXT) | instid1(VALU_DEP_2)
	v_add_f64_e32 v[108:109], v[124:125], v[108:109]
	v_fma_f64 v[134:135], v[24:25], s[12:13], -v[132:133]
	v_fma_f64 v[124:125], v[24:25], s[12:13], v[132:133]
	s_delay_alu instid0(VALU_DEP_2) | instskip(SKIP_1) | instid1(VALU_DEP_3)
	v_add_f64_e32 v[114:115], v[134:135], v[114:115]
	v_mul_f64_e32 v[134:135], s[30:31], v[44:45]
	v_add_f64_e32 v[110:111], v[124:125], v[110:111]
	s_delay_alu instid0(VALU_DEP_2) | instskip(SKIP_1) | instid1(VALU_DEP_2)
	v_fma_f64 v[136:137], v[26:27], s[12:13], v[134:135]
	v_fma_f64 v[124:125], v[26:27], s[12:13], -v[134:135]
	v_add_f64_e32 v[112:113], v[136:137], v[112:113]
	v_mul_f64_e32 v[136:137], s[50:51], v[42:43]
	s_delay_alu instid0(VALU_DEP_3) | instskip(NEXT) | instid1(VALU_DEP_2)
	;; [unrolled: 13-line block ×4, first 2 shown]
	v_add_f64_e32 v[108:109], v[124:125], v[108:109]
	v_fma_f64 v[146:147], v[4:5], s[2:3], -v[144:145]
	v_fma_f64 v[124:125], v[4:5], s[2:3], v[144:145]
	s_delay_alu instid0(VALU_DEP_2) | instskip(SKIP_1) | instid1(VALU_DEP_3)
	v_add_f64_e32 v[114:115], v[146:147], v[114:115]
	v_mul_f64_e32 v[146:147], s[36:37], v[20:21]
	v_add_f64_e32 v[110:111], v[124:125], v[110:111]
	s_delay_alu instid0(VALU_DEP_2) | instskip(SKIP_1) | instid1(VALU_DEP_2)
	v_fma_f64 v[124:125], v[6:7], s[2:3], -v[146:147]
	v_fma_f64 v[148:149], v[6:7], s[2:3], v[146:147]
	v_add_f64_e32 v[124:125], v[124:125], v[108:109]
	v_fma_f64 v[108:109], v[0:1], s[20:21], v[150:151]
	s_delay_alu instid0(VALU_DEP_3) | instskip(SKIP_2) | instid1(VALU_DEP_4)
	v_add_f64_e32 v[148:149], v[148:149], v[112:113]
	v_fma_f64 v[112:113], v[0:1], s[20:21], -v[150:151]
	v_mul_f64_e32 v[150:151], s[26:27], v[14:15]
	v_add_f64_e32 v[108:109], v[108:109], v[110:111]
	v_add_f64_e32 v[110:111], v[126:127], v[124:125]
	v_mul_f64_e32 v[124:125], s[44:45], v[102:103]
	v_add_f64_e32 v[112:113], v[112:113], v[114:115]
	v_fma_f64 v[114:115], v[2:3], s[20:21], v[152:153]
	v_mul_f64_e32 v[152:153], s[26:27], v[12:13]
	s_delay_alu instid0(VALU_DEP_4) | instskip(SKIP_1) | instid1(VALU_DEP_4)
	v_fma_f64 v[126:127], v[36:37], s[20:21], -v[124:125]
	v_fma_f64 v[124:125], v[36:37], s[20:21], v[124:125]
	v_add_f64_e32 v[114:115], v[114:115], v[148:149]
	s_delay_alu instid0(VALU_DEP_3) | instskip(SKIP_1) | instid1(VALU_DEP_4)
	v_add_f64_e32 v[66:67], v[126:127], v[66:67]
	v_mul_f64_e32 v[126:127], s[44:45], v[100:101]
	v_add_f64_e32 v[62:63], v[124:125], v[62:63]
	s_delay_alu instid0(VALU_DEP_2) | instskip(SKIP_2) | instid1(VALU_DEP_3)
	v_fma_f64 v[128:129], v[38:39], s[20:21], v[126:127]
	v_fma_f64 v[124:125], v[38:39], s[20:21], -v[126:127]
	v_fma_f64 v[126:127], v[2:3], s[16:17], -v[152:153]
	v_add_f64_e32 v[64:65], v[128:129], v[64:65]
	v_mul_f64_e32 v[128:129], s[38:39], v[98:99]
	s_delay_alu instid0(VALU_DEP_4) | instskip(NEXT) | instid1(VALU_DEP_2)
	v_add_f64_e32 v[60:61], v[124:125], v[60:61]
	v_fma_f64 v[130:131], v[32:33], s[18:19], -v[128:129]
	v_fma_f64 v[124:125], v[32:33], s[18:19], v[128:129]
	s_delay_alu instid0(VALU_DEP_2) | instskip(SKIP_1) | instid1(VALU_DEP_3)
	v_add_f64_e32 v[66:67], v[130:131], v[66:67]
	v_mul_f64_e32 v[130:131], s[38:39], v[96:97]
	v_add_f64_e32 v[62:63], v[124:125], v[62:63]
	s_delay_alu instid0(VALU_DEP_2) | instskip(SKIP_1) | instid1(VALU_DEP_2)
	v_fma_f64 v[132:133], v[34:35], s[18:19], v[130:131]
	v_fma_f64 v[124:125], v[34:35], s[18:19], -v[130:131]
	v_add_f64_e32 v[64:65], v[132:133], v[64:65]
	v_mul_f64_e32 v[132:133], s[54:55], v[46:47]
	s_delay_alu instid0(VALU_DEP_3) | instskip(NEXT) | instid1(VALU_DEP_2)
	v_add_f64_e32 v[60:61], v[124:125], v[60:61]
	v_fma_f64 v[134:135], v[24:25], s[14:15], -v[132:133]
	v_fma_f64 v[124:125], v[24:25], s[14:15], v[132:133]
	s_delay_alu instid0(VALU_DEP_2) | instskip(SKIP_1) | instid1(VALU_DEP_3)
	v_add_f64_e32 v[66:67], v[134:135], v[66:67]
	v_mul_f64_e32 v[134:135], s[54:55], v[44:45]
	v_add_f64_e32 v[62:63], v[124:125], v[62:63]
	s_delay_alu instid0(VALU_DEP_2) | instskip(SKIP_1) | instid1(VALU_DEP_2)
	v_fma_f64 v[136:137], v[26:27], s[14:15], v[134:135]
	v_fma_f64 v[124:125], v[26:27], s[14:15], -v[134:135]
	v_add_f64_e32 v[64:65], v[136:137], v[64:65]
	v_mul_f64_e32 v[136:137], s[34:35], v[42:43]
	s_delay_alu instid0(VALU_DEP_3) | instskip(NEXT) | instid1(VALU_DEP_2)
	v_add_f64_e32 v[60:61], v[124:125], v[60:61]
	v_fma_f64 v[138:139], v[16:17], s[24:25], -v[136:137]
	v_fma_f64 v[124:125], v[16:17], s[24:25], v[136:137]
	s_delay_alu instid0(VALU_DEP_2) | instskip(SKIP_1) | instid1(VALU_DEP_3)
	v_add_f64_e32 v[66:67], v[138:139], v[66:67]
	v_mul_f64_e32 v[138:139], s[34:35], v[40:41]
	v_add_f64_e32 v[62:63], v[124:125], v[62:63]
	s_delay_alu instid0(VALU_DEP_2) | instskip(SKIP_1) | instid1(VALU_DEP_2)
	v_fma_f64 v[140:141], v[18:19], s[24:25], v[138:139]
	v_fma_f64 v[124:125], v[18:19], s[24:25], -v[138:139]
	v_add_f64_e32 v[64:65], v[140:141], v[64:65]
	v_mul_f64_e32 v[140:141], s[36:37], v[30:31]
	s_delay_alu instid0(VALU_DEP_3) | instskip(NEXT) | instid1(VALU_DEP_2)
	v_add_f64_e32 v[60:61], v[124:125], v[60:61]
	v_fma_f64 v[142:143], v[8:9], s[2:3], -v[140:141]
	v_fma_f64 v[124:125], v[8:9], s[2:3], v[140:141]
	s_delay_alu instid0(VALU_DEP_2) | instskip(SKIP_1) | instid1(VALU_DEP_3)
	v_add_f64_e32 v[66:67], v[142:143], v[66:67]
	v_mul_f64_e32 v[142:143], s[36:37], v[28:29]
	v_add_f64_e32 v[62:63], v[124:125], v[62:63]
	s_delay_alu instid0(VALU_DEP_2) | instskip(SKIP_1) | instid1(VALU_DEP_2)
	v_fma_f64 v[144:145], v[10:11], s[2:3], v[142:143]
	v_fma_f64 v[124:125], v[10:11], s[2:3], -v[142:143]
	v_add_f64_e32 v[64:65], v[144:145], v[64:65]
	v_mul_f64_e32 v[144:145], s[48:49], v[22:23]
	s_delay_alu instid0(VALU_DEP_3) | instskip(NEXT) | instid1(VALU_DEP_2)
	v_add_f64_e32 v[60:61], v[124:125], v[60:61]
	v_fma_f64 v[146:147], v[4:5], s[22:23], -v[144:145]
	v_fma_f64 v[124:125], v[4:5], s[22:23], v[144:145]
	s_delay_alu instid0(VALU_DEP_2) | instskip(SKIP_1) | instid1(VALU_DEP_3)
	v_add_f64_e32 v[66:67], v[146:147], v[66:67]
	v_mul_f64_e32 v[146:147], s[48:49], v[20:21]
	v_add_f64_e32 v[62:63], v[124:125], v[62:63]
	s_delay_alu instid0(VALU_DEP_2) | instskip(SKIP_1) | instid1(VALU_DEP_2)
	v_fma_f64 v[124:125], v[6:7], s[22:23], -v[146:147]
	v_fma_f64 v[148:149], v[6:7], s[22:23], v[146:147]
	v_add_f64_e32 v[124:125], v[124:125], v[60:61]
	v_fma_f64 v[60:61], v[0:1], s[16:17], v[150:151]
	s_delay_alu instid0(VALU_DEP_3) | instskip(SKIP_2) | instid1(VALU_DEP_4)
	v_add_f64_e32 v[148:149], v[148:149], v[64:65]
	v_fma_f64 v[64:65], v[0:1], s[16:17], -v[150:151]
	v_mul_f64_e32 v[150:151], s[50:51], v[14:15]
	v_add_f64_e32 v[60:61], v[60:61], v[62:63]
	v_add_f64_e32 v[62:63], v[126:127], v[124:125]
	v_mul_f64_e32 v[124:125], s[46:47], v[102:103]
	v_add_f64_e32 v[64:65], v[64:65], v[66:67]
	v_fma_f64 v[66:67], v[2:3], s[16:17], v[152:153]
	v_mul_f64_e32 v[152:153], s[50:51], v[12:13]
	v_mul_f64_e32 v[102:103], s[40:41], v[102:103]
	v_fma_f64 v[126:127], v[36:37], s[24:25], -v[124:125]
	v_fma_f64 v[124:125], v[36:37], s[24:25], v[124:125]
	v_add_f64_e32 v[66:67], v[66:67], v[148:149]
	s_delay_alu instid0(VALU_DEP_3) | instskip(SKIP_1) | instid1(VALU_DEP_4)
	v_add_f64_e32 v[58:59], v[126:127], v[58:59]
	v_mul_f64_e32 v[126:127], s[46:47], v[100:101]
	v_add_f64_e32 v[54:55], v[124:125], v[54:55]
	v_mul_f64_e32 v[100:101], s[40:41], v[100:101]
	s_delay_alu instid0(VALU_DEP_3) | instskip(SKIP_2) | instid1(VALU_DEP_3)
	v_fma_f64 v[128:129], v[38:39], s[24:25], v[126:127]
	v_fma_f64 v[124:125], v[38:39], s[24:25], -v[126:127]
	v_fma_f64 v[126:127], v[2:3], s[18:19], -v[152:153]
	v_add_f64_e32 v[56:57], v[128:129], v[56:57]
	v_mul_f64_e32 v[128:129], s[30:31], v[98:99]
	s_delay_alu instid0(VALU_DEP_4) | instskip(SKIP_1) | instid1(VALU_DEP_3)
	v_add_f64_e32 v[52:53], v[124:125], v[52:53]
	v_mul_f64_e32 v[98:99], s[42:43], v[98:99]
	v_fma_f64 v[130:131], v[32:33], s[12:13], -v[128:129]
	v_fma_f64 v[124:125], v[32:33], s[12:13], v[128:129]
	s_delay_alu instid0(VALU_DEP_2) | instskip(SKIP_1) | instid1(VALU_DEP_3)
	v_add_f64_e32 v[58:59], v[130:131], v[58:59]
	v_mul_f64_e32 v[130:131], s[30:31], v[96:97]
	v_add_f64_e32 v[54:55], v[124:125], v[54:55]
	v_mul_f64_e32 v[96:97], s[42:43], v[96:97]
	s_delay_alu instid0(VALU_DEP_3) | instskip(SKIP_1) | instid1(VALU_DEP_2)
	v_fma_f64 v[132:133], v[34:35], s[12:13], v[130:131]
	v_fma_f64 v[124:125], v[34:35], s[12:13], -v[130:131]
	v_add_f64_e32 v[56:57], v[132:133], v[56:57]
	v_mul_f64_e32 v[132:133], s[48:49], v[46:47]
	s_delay_alu instid0(VALU_DEP_3) | instskip(SKIP_1) | instid1(VALU_DEP_3)
	v_add_f64_e32 v[52:53], v[124:125], v[52:53]
	v_mul_f64_e32 v[46:47], s[38:39], v[46:47]
	v_fma_f64 v[134:135], v[24:25], s[22:23], -v[132:133]
	v_fma_f64 v[124:125], v[24:25], s[22:23], v[132:133]
	s_delay_alu instid0(VALU_DEP_2) | instskip(SKIP_1) | instid1(VALU_DEP_3)
	v_add_f64_e32 v[58:59], v[134:135], v[58:59]
	v_mul_f64_e32 v[134:135], s[48:49], v[44:45]
	v_add_f64_e32 v[54:55], v[124:125], v[54:55]
	v_mul_f64_e32 v[44:45], s[38:39], v[44:45]
	s_delay_alu instid0(VALU_DEP_3) | instskip(SKIP_1) | instid1(VALU_DEP_2)
	v_fma_f64 v[136:137], v[26:27], s[22:23], v[134:135]
	v_fma_f64 v[124:125], v[26:27], s[22:23], -v[134:135]
	v_add_f64_e32 v[56:57], v[136:137], v[56:57]
	v_mul_f64_e32 v[136:137], s[28:29], v[42:43]
	s_delay_alu instid0(VALU_DEP_3) | instskip(SKIP_1) | instid1(VALU_DEP_3)
	;; [unrolled: 15-line block ×4, first 2 shown]
	v_add_f64_e32 v[52:53], v[124:125], v[52:53]
	v_mul_f64_e32 v[22:23], s[30:31], v[22:23]
	v_fma_f64 v[146:147], v[4:5], s[16:17], -v[144:145]
	v_fma_f64 v[124:125], v[4:5], s[16:17], v[144:145]
	s_delay_alu instid0(VALU_DEP_2) | instskip(SKIP_1) | instid1(VALU_DEP_3)
	v_add_f64_e32 v[58:59], v[146:147], v[58:59]
	v_mul_f64_e32 v[146:147], s[26:27], v[20:21]
	v_add_f64_e32 v[54:55], v[124:125], v[54:55]
	v_mul_f64_e32 v[20:21], s[30:31], v[20:21]
	s_delay_alu instid0(VALU_DEP_3) | instskip(SKIP_1) | instid1(VALU_DEP_2)
	v_fma_f64 v[124:125], v[6:7], s[16:17], -v[146:147]
	v_fma_f64 v[148:149], v[6:7], s[16:17], v[146:147]
	v_add_f64_e32 v[124:125], v[124:125], v[52:53]
	v_fma_f64 v[52:53], v[0:1], s[18:19], v[150:151]
	s_delay_alu instid0(VALU_DEP_3) | instskip(SKIP_1) | instid1(VALU_DEP_3)
	v_add_f64_e32 v[148:149], v[148:149], v[56:57]
	v_fma_f64 v[56:57], v[0:1], s[18:19], -v[150:151]
	v_add_f64_e32 v[52:53], v[52:53], v[54:55]
	v_add_f64_e32 v[54:55], v[126:127], v[124:125]
	v_fma_f64 v[124:125], v[36:37], s[22:23], v[102:103]
	v_fma_f64 v[36:37], v[36:37], s[22:23], -v[102:103]
	v_mul_f64_e32 v[126:127], s[36:37], v[12:13]
	v_add_f64_e32 v[56:57], v[56:57], v[58:59]
	v_fma_f64 v[58:59], v[2:3], s[18:19], v[152:153]
	v_add_f64_e32 v[50:51], v[124:125], v[50:51]
	v_fma_f64 v[124:125], v[38:39], s[22:23], -v[100:101]
	v_fma_f64 v[38:39], v[38:39], s[22:23], v[100:101]
	v_add_f64_e32 v[36:37], v[36:37], v[104:105]
	v_add_f64_e32 v[58:59], v[58:59], v[148:149]
	s_delay_alu instid0(VALU_DEP_4) | instskip(SKIP_3) | instid1(VALU_DEP_3)
	v_add_f64_e32 v[48:49], v[124:125], v[48:49]
	v_fma_f64 v[124:125], v[32:33], s[20:21], v[98:99]
	v_fma_f64 v[32:33], v[32:33], s[20:21], -v[98:99]
	v_add_f64_e32 v[38:39], v[38:39], v[106:107]
	v_add_f64_e32 v[50:51], v[124:125], v[50:51]
	v_fma_f64 v[124:125], v[34:35], s[20:21], -v[96:97]
	v_fma_f64 v[34:35], v[34:35], s[20:21], v[96:97]
	v_add_f64_e32 v[32:33], v[32:33], v[36:37]
	s_delay_alu instid0(VALU_DEP_3) | instskip(SKIP_3) | instid1(VALU_DEP_3)
	v_add_f64_e32 v[48:49], v[124:125], v[48:49]
	v_fma_f64 v[124:125], v[24:25], s[18:19], v[46:47]
	v_fma_f64 v[24:25], v[24:25], s[18:19], -v[46:47]
	v_add_f64_e32 v[34:35], v[34:35], v[38:39]
	v_add_f64_e32 v[50:51], v[124:125], v[50:51]
	v_fma_f64 v[124:125], v[26:27], s[18:19], -v[44:45]
	v_fma_f64 v[26:27], v[26:27], s[18:19], v[44:45]
	v_add_f64_e32 v[24:25], v[24:25], v[32:33]
	s_delay_alu instid0(VALU_DEP_3) | instskip(SKIP_3) | instid1(VALU_DEP_3)
	v_add_f64_e32 v[48:49], v[124:125], v[48:49]
	v_fma_f64 v[124:125], v[16:17], s[16:17], v[42:43]
	v_fma_f64 v[16:17], v[16:17], s[16:17], -v[42:43]
	v_add_f64_e32 v[26:27], v[26:27], v[34:35]
	v_add_f64_e32 v[50:51], v[124:125], v[50:51]
	v_fma_f64 v[124:125], v[18:19], s[16:17], -v[40:41]
	v_fma_f64 v[18:19], v[18:19], s[16:17], v[40:41]
	v_add_f64_e32 v[16:17], v[16:17], v[24:25]
	s_delay_alu instid0(VALU_DEP_3) | instskip(SKIP_3) | instid1(VALU_DEP_3)
	v_add_f64_e32 v[48:49], v[124:125], v[48:49]
	v_fma_f64 v[124:125], v[8:9], s[14:15], v[30:31]
	v_fma_f64 v[8:9], v[8:9], s[14:15], -v[30:31]
	v_add_f64_e32 v[18:19], v[18:19], v[26:27]
	v_add_f64_e32 v[50:51], v[124:125], v[50:51]
	v_fma_f64 v[124:125], v[10:11], s[14:15], -v[28:29]
	v_fma_f64 v[10:11], v[10:11], s[14:15], v[28:29]
	v_add_f64_e32 v[8:9], v[8:9], v[16:17]
	s_delay_alu instid0(VALU_DEP_3) | instskip(SKIP_3) | instid1(VALU_DEP_3)
	v_add_f64_e32 v[48:49], v[124:125], v[48:49]
	v_fma_f64 v[124:125], v[4:5], s[12:13], v[22:23]
	v_fma_f64 v[4:5], v[4:5], s[12:13], -v[22:23]
	v_add_f64_e32 v[10:11], v[10:11], v[18:19]
	v_add_f64_e32 v[50:51], v[124:125], v[50:51]
	v_fma_f64 v[124:125], v[6:7], s[12:13], -v[20:21]
	v_fma_f64 v[6:7], v[6:7], s[12:13], v[20:21]
	v_add_f64_e32 v[4:5], v[4:5], v[8:9]
	s_delay_alu instid0(VALU_DEP_3) | instskip(SKIP_4) | instid1(VALU_DEP_4)
	v_add_f64_e32 v[48:49], v[124:125], v[48:49]
	v_mul_f64_e32 v[124:125], s[36:37], v[14:15]
	v_fma_f64 v[14:15], v[2:3], s[2:3], -v[126:127]
	v_fma_f64 v[2:3], v[2:3], s[2:3], v[126:127]
	v_add_f64_e32 v[6:7], v[6:7], v[10:11]
	v_fma_f64 v[12:13], v[0:1], s[2:3], v[124:125]
	v_fma_f64 v[0:1], v[0:1], s[2:3], -v[124:125]
	v_add_f64_e32 v[14:15], v[14:15], v[48:49]
	s_delay_alu instid0(VALU_DEP_4) | instskip(NEXT) | instid1(VALU_DEP_4)
	v_add_f64_e32 v[2:3], v[2:3], v[6:7]
	v_add_f64_e32 v[12:13], v[12:13], v[50:51]
	s_delay_alu instid0(VALU_DEP_4) | instskip(SKIP_1) | instid1(VALU_DEP_1)
	v_add_f64_e32 v[0:1], v[0:1], v[4:5]
	v_mul_lo_u16 v4, v243, 17
	v_and_b32_e32 v4, 0xffff, v4
	s_delay_alu instid0(VALU_DEP_1)
	v_lshlrev_b32_e32 v224, 4, v4
	ds_store_b128 v224, v[68:71] offset:32
	ds_store_b128 v224, v[80:83] offset:48
	;; [unrolled: 1-line block ×16, first 2 shown]
	ds_store_b128 v224, v[72:75]
	v_and_b32_e32 v0, 0xff, v243
	s_delay_alu instid0(VALU_DEP_1) | instskip(NEXT) | instid1(VALU_DEP_1)
	v_mul_lo_u16 v0, 0xf1, v0
	v_lshrrev_b16 v0, 12, v0
	scratch_store_b32 off, v0, off offset:4 ; 4-byte Folded Spill
	v_mul_lo_u16 v0, v0, 17
	global_wb scope:SCOPE_SE
	s_wait_storecnt_dscnt 0x0
	s_barrier_signal -1
	s_barrier_wait -1
	global_inv scope:SCOPE_SE
	v_sub_nc_u16 v0, v243, v0
	s_delay_alu instid0(VALU_DEP_1) | instskip(NEXT) | instid1(VALU_DEP_1)
	v_and_b32_e32 v244, 0xff, v0
	v_lshlrev_b32_e32 v0, 8, v244
	s_clause 0x1
	global_load_b128 v[7:10], v0, s[10:11]
	global_load_b128 v[20:23], v0, s[10:11] offset:16
	ds_load_b128 v[76:79], v255 offset:816
	ds_load_b128 v[1:4], v255
	s_wait_loadcnt_dscnt 0x101
	v_mul_f64_e32 v[5:6], v[78:79], v[9:10]
	scratch_store_b128 off, v[7:10], off offset:316 ; 16-byte Folded Spill
	v_fma_f64 v[16:17], v[76:77], v[7:8], -v[5:6]
	v_mul_f64_e32 v[5:6], v[76:77], v[9:10]
	s_delay_alu instid0(VALU_DEP_1)
	v_fma_f64 v[18:19], v[78:79], v[7:8], v[5:6]
	ds_load_b128 v[5:8], v255 offset:1632
	ds_load_b128 v[9:12], v255 offset:2448
	s_wait_loadcnt 0x0
	scratch_store_b128 off, v[20:23], off offset:300 ; 16-byte Folded Spill
	s_wait_dscnt 0x1
	v_mul_f64_e32 v[13:14], v[7:8], v[22:23]
	s_delay_alu instid0(VALU_DEP_1) | instskip(SKIP_1) | instid1(VALU_DEP_1)
	v_fma_f64 v[172:173], v[5:6], v[20:21], -v[13:14]
	v_mul_f64_e32 v[5:6], v[5:6], v[22:23]
	v_fma_f64 v[174:175], v[7:8], v[20:21], v[5:6]
	s_clause 0x1
	global_load_b128 v[24:27], v0, s[10:11] offset:32
	global_load_b128 v[20:23], v0, s[10:11] offset:48
	s_wait_loadcnt_dscnt 0x100
	v_mul_f64_e32 v[5:6], v[11:12], v[26:27]
	scratch_store_b128 off, v[24:27], off offset:380 ; 16-byte Folded Spill
	v_fma_f64 v[176:177], v[9:10], v[24:25], -v[5:6]
	v_mul_f64_e32 v[5:6], v[9:10], v[26:27]
	s_delay_alu instid0(VALU_DEP_1)
	v_fma_f64 v[178:179], v[11:12], v[24:25], v[5:6]
	ds_load_b128 v[5:8], v255 offset:3264
	ds_load_b128 v[9:12], v255 offset:4080
	s_wait_loadcnt 0x0
	scratch_store_b128 off, v[20:23], off offset:332 ; 16-byte Folded Spill
	s_wait_dscnt 0x1
	v_mul_f64_e32 v[13:14], v[7:8], v[22:23]
	s_delay_alu instid0(VALU_DEP_1) | instskip(SKIP_1) | instid1(VALU_DEP_1)
	v_fma_f64 v[180:181], v[5:6], v[20:21], -v[13:14]
	v_mul_f64_e32 v[5:6], v[5:6], v[22:23]
	v_fma_f64 v[182:183], v[7:8], v[20:21], v[5:6]
	s_clause 0x1
	global_load_b128 v[24:27], v0, s[10:11] offset:64
	global_load_b128 v[20:23], v0, s[10:11] offset:80
	;; [unrolled: 20-line block ×3, first 2 shown]
	s_wait_loadcnt_dscnt 0x100
	v_mul_f64_e32 v[5:6], v[11:12], v[110:111]
	s_delay_alu instid0(VALU_DEP_1) | instskip(SKIP_1) | instid1(VALU_DEP_1)
	v_fma_f64 v[196:197], v[9:10], v[108:109], -v[5:6]
	v_mul_f64_e32 v[5:6], v[9:10], v[110:111]
	v_fma_f64 v[198:199], v[11:12], v[108:109], v[5:6]
	ds_load_b128 v[5:8], v255 offset:6528
	ds_load_b128 v[9:12], v255 offset:7344
	s_wait_loadcnt 0x0
	scratch_store_b128 off, v[20:23], off offset:364 ; 16-byte Folded Spill
	s_wait_dscnt 0x1
	v_mul_f64_e32 v[13:14], v[7:8], v[22:23]
	s_delay_alu instid0(VALU_DEP_1) | instskip(SKIP_1) | instid1(VALU_DEP_1)
	v_fma_f64 v[200:201], v[5:6], v[20:21], -v[13:14]
	v_mul_f64_e32 v[5:6], v[5:6], v[22:23]
	v_fma_f64 v[202:203], v[7:8], v[20:21], v[5:6]
	s_clause 0x1
	global_load_b128 v[116:119], v0, s[10:11] offset:128
	global_load_b128 v[20:23], v0, s[10:11] offset:144
	s_wait_loadcnt_dscnt 0x100
	v_mul_f64_e32 v[5:6], v[11:12], v[118:119]
	s_delay_alu instid0(VALU_DEP_1) | instskip(SKIP_1) | instid1(VALU_DEP_2)
	v_fma_f64 v[204:205], v[9:10], v[116:117], -v[5:6]
	v_mul_f64_e32 v[5:6], v[9:10], v[118:119]
	v_add_f64_e64 v[229:230], v[200:201], -v[204:205]
	s_delay_alu instid0(VALU_DEP_2)
	v_fma_f64 v[206:207], v[11:12], v[116:117], v[5:6]
	ds_load_b128 v[5:8], v255 offset:8160
	ds_load_b128 v[9:12], v255 offset:8976
	s_wait_loadcnt 0x0
	scratch_store_b128 off, v[20:23], off offset:396 ; 16-byte Folded Spill
	s_clause 0x1
	global_load_b128 v[120:123], v0, s[10:11] offset:160
	global_load_b128 v[104:107], v0, s[10:11] offset:176
	s_wait_dscnt 0x1
	v_mul_f64_e32 v[13:14], v[7:8], v[22:23]
	v_add_f64_e64 v[231:232], v[202:203], -v[206:207]
	s_delay_alu instid0(VALU_DEP_2) | instskip(SKIP_1) | instid1(VALU_DEP_3)
	v_fma_f64 v[208:209], v[5:6], v[20:21], -v[13:14]
	v_mul_f64_e32 v[5:6], v[5:6], v[22:23]
	v_mul_f64_e32 v[80:81], s[46:47], v[231:232]
	s_delay_alu instid0(VALU_DEP_3) | instskip(NEXT) | instid1(VALU_DEP_3)
	v_add_f64_e64 v[237:238], v[196:197], -v[208:209]
	v_fma_f64 v[210:211], v[7:8], v[20:21], v[5:6]
	s_wait_loadcnt_dscnt 0x100
	v_mul_f64_e32 v[5:6], v[11:12], v[122:123]
	s_delay_alu instid0(VALU_DEP_1) | instskip(SKIP_1) | instid1(VALU_DEP_1)
	v_fma_f64 v[212:213], v[9:10], v[120:121], -v[5:6]
	v_mul_f64_e32 v[5:6], v[9:10], v[122:123]
	v_fma_f64 v[214:215], v[11:12], v[120:121], v[5:6]
	ds_load_b128 v[5:8], v255 offset:9792
	ds_load_b128 v[9:12], v255 offset:10608
	s_clause 0x1
	global_load_b128 v[128:131], v0, s[10:11] offset:192
	global_load_b128 v[112:115], v0, s[10:11] offset:208
	s_wait_loadcnt_dscnt 0x201
	v_mul_f64_e32 v[13:14], v[7:8], v[106:107]
	s_delay_alu instid0(VALU_DEP_1) | instskip(SKIP_1) | instid1(VALU_DEP_1)
	v_fma_f64 v[216:217], v[5:6], v[104:105], -v[13:14]
	v_mul_f64_e32 v[5:6], v[5:6], v[106:107]
	v_fma_f64 v[218:219], v[7:8], v[104:105], v[5:6]
	s_wait_loadcnt_dscnt 0x100
	v_mul_f64_e32 v[5:6], v[11:12], v[130:131]
	s_delay_alu instid0(VALU_DEP_1) | instskip(SKIP_1) | instid1(VALU_DEP_1)
	v_fma_f64 v[220:221], v[9:10], v[128:129], -v[5:6]
	v_mul_f64_e32 v[5:6], v[9:10], v[130:131]
	v_fma_f64 v[222:223], v[11:12], v[128:129], v[5:6]
	ds_load_b128 v[5:8], v255 offset:11424
	ds_load_b128 v[9:12], v255 offset:12240
	s_clause 0x1
	global_load_b128 v[132:135], v0, s[10:11] offset:224
	global_load_b128 v[124:127], v0, s[10:11] offset:240
	s_wait_loadcnt_dscnt 0x201
	v_mul_f64_e32 v[13:14], v[7:8], v[114:115]
	s_delay_alu instid0(VALU_DEP_1) | instskip(SKIP_1) | instid1(VALU_DEP_1)
	v_fma_f64 v[225:226], v[5:6], v[112:113], -v[13:14]
	v_mul_f64_e32 v[5:6], v[5:6], v[114:115]
	v_fma_f64 v[227:228], v[7:8], v[112:113], v[5:6]
	s_delay_alu instid0(VALU_DEP_1) | instskip(SKIP_2) | instid1(VALU_DEP_1)
	v_add_f64_e32 v[241:242], v[178:179], v[227:228]
	s_wait_loadcnt_dscnt 0x100
	v_mul_f64_e32 v[5:6], v[11:12], v[134:135]
	v_fma_f64 v[239:240], v[9:10], v[132:133], -v[5:6]
	v_mul_f64_e32 v[5:6], v[9:10], v[134:135]
	s_delay_alu instid0(VALU_DEP_2) | instskip(NEXT) | instid1(VALU_DEP_2)
	v_add_f64_e32 v[245:246], v[172:173], v[239:240]
	v_fma_f64 v[20:21], v[11:12], v[132:133], v[5:6]
	ds_load_b128 v[5:8], v255 offset:13056
	s_wait_loadcnt_dscnt 0x0
	v_mul_f64_e32 v[9:10], v[5:6], v[126:127]
	v_add_f64_e32 v[249:250], v[174:175], v[20:21]
	s_delay_alu instid0(VALU_DEP_2) | instskip(SKIP_1) | instid1(VALU_DEP_2)
	v_fma_f64 v[14:15], v[7:8], v[124:125], v[9:10]
	v_mul_f64_e32 v[7:8], v[7:8], v[126:127]
	v_add_f64_e32 v[64:65], v[18:19], v[14:15]
	s_delay_alu instid0(VALU_DEP_2) | instskip(SKIP_1) | instid1(VALU_DEP_2)
	v_fma_f64 v[10:11], v[5:6], v[124:125], -v[7:8]
	v_add_f64_e64 v[5:6], v[18:19], -v[14:15]
	v_add_f64_e32 v[32:33], v[16:17], v[10:11]
	s_delay_alu instid0(VALU_DEP_2)
	v_mul_f64_e32 v[7:8], s[34:35], v[5:6]
	v_mul_f64_e32 v[12:13], s[40:41], v[5:6]
	;; [unrolled: 1-line block ×8, first 2 shown]
	v_fma_f64 v[34:35], v[32:33], s[24:25], -v[7:8]
	v_fma_f64 v[7:8], v[32:33], s[24:25], v[7:8]
	v_fma_f64 v[36:37], v[32:33], s[22:23], -v[12:13]
	v_fma_f64 v[12:13], v[32:33], s[22:23], v[12:13]
	;; [unrolled: 2-line block ×8, first 2 shown]
	v_add_f64_e64 v[32:33], v[16:17], -v[10:11]
	v_add_f64_e32 v[16:17], v[1:2], v[16:17]
	v_add_f64_e32 v[7:8], v[1:2], v[7:8]
	;; [unrolled: 1-line block ×13, first 2 shown]
	v_add_f64_e64 v[44:45], v[190:191], -v[218:219]
	v_add_f64_e64 v[46:47], v[188:189], -v[216:217]
	v_mul_f64_e32 v[50:51], s[34:35], v[32:33]
	v_mul_f64_e32 v[62:63], s[30:31], v[32:33]
	scratch_store_b64 off, v[16:17], off offset:452 ; 8-byte Folded Spill
	v_add_f64_e32 v[16:17], v[3:4], v[18:19]
	v_mul_f64_e32 v[52:53], s[40:41], v[32:33]
	v_mul_f64_e32 v[54:55], s[42:43], v[32:33]
	;; [unrolled: 1-line block ×6, first 2 shown]
	scratch_store_b64 off, v[7:8], off offset:428 ; 8-byte Folded Spill
	v_fma_f64 v[66:67], v[64:65], s[24:25], v[50:51]
	v_fma_f64 v[50:51], v[64:65], s[24:25], -v[50:51]
	v_fma_f64 v[184:185], v[64:65], s[12:13], v[62:63]
	v_fma_f64 v[62:63], v[64:65], s[12:13], -v[62:63]
	;; [unrolled: 2-line block ×8, first 2 shown]
	v_add_f64_e32 v[18:19], v[3:4], v[66:67]
	v_add_f64_e32 v[7:8], v[3:4], v[50:51]
	scratch_store_b64 off, v[16:17], off offset:460 ; 8-byte Folded Spill
	v_add_f64_e32 v[16:17], v[1:2], v[34:35]
	v_add_f64_e32 v[136:137], v[3:4], v[68:69]
	;; [unrolled: 1-line block ×12, first 2 shown]
	v_add_f64_e64 v[34:35], v[180:181], -v[220:221]
	v_add_f64_e64 v[60:61], v[194:195], -v[214:215]
	;; [unrolled: 1-line block ×3, first 2 shown]
	v_mul_f64_e32 v[56:57], s[30:31], v[237:238]
	scratch_store_b64 off, v[7:8], off offset:444 ; 8-byte Folded Spill
	v_add_f64_e32 v[7:8], v[1:2], v[30:31]
	v_mul_f64_e32 v[30:31], s[26:27], v[46:47]
	v_mul_f64_e32 v[22:23], s[38:39], v[34:35]
	scratch_store_b64 off, v[7:8], off offset:516 ; 8-byte Folded Spill
	v_add_f64_e32 v[7:8], v[3:4], v[62:63]
	v_add_f64_e64 v[62:63], v[192:193], -v[212:213]
	scratch_store_b64 off, v[7:8], off offset:508 ; 8-byte Folded Spill
	v_add_f64_e32 v[7:8], v[1:2], v[48:49]
	v_add_f64_e32 v[0:1], v[1:2], v[5:6]
	v_mul_f64_e32 v[42:43], s[28:29], v[62:63]
	s_clause 0x1
	scratch_store_b64 off, v[7:8], off offset:500
	scratch_store_b64 off, v[0:1], off offset:476
	v_add_f64_e32 v[7:8], v[3:4], v[186:187]
	v_add_f64_e32 v[0:1], v[3:4], v[32:33]
	v_add_f64_e64 v[4:5], v[174:175], -v[20:21]
	v_add_f64_e64 v[32:33], v[182:183], -v[222:223]
	scratch_store_b64 off, v[0:1], off offset:484 ; 8-byte Folded Spill
	v_mul_f64_e32 v[0:1], s[40:41], v[4:5]
	scratch_store_b64 off, v[7:8], off offset:492 ; 8-byte Folded Spill
	v_add_f64_e64 v[6:7], v[172:173], -v[239:240]
	v_mul_f64_e32 v[50:51], s[38:39], v[32:33]
	scratch_store_b64 off, v[0:1], off offset:468 ; 8-byte Folded Spill
	v_fma_f64 v[0:1], v[245:246], s[22:23], -v[0:1]
	v_mul_f64_e32 v[247:248], s[40:41], v[6:7]
	s_delay_alu instid0(VALU_DEP_2) | instskip(NEXT) | instid1(VALU_DEP_2)
	v_add_f64_e32 v[2:3], v[0:1], v[16:17]
	v_fma_f64 v[0:1], v[249:250], s[22:23], v[247:248]
	v_add_f64_e64 v[16:17], v[178:179], -v[227:228]
	s_delay_alu instid0(VALU_DEP_2) | instskip(SKIP_1) | instid1(VALU_DEP_3)
	v_add_f64_e32 v[8:9], v[0:1], v[18:19]
	v_add_f64_e32 v[0:1], v[176:177], v[225:226]
	v_mul_f64_e32 v[70:71], s[42:43], v[16:17]
	v_add_f64_e64 v[18:19], v[176:177], -v[225:226]
	s_delay_alu instid0(VALU_DEP_2) | instskip(NEXT) | instid1(VALU_DEP_2)
	v_fma_f64 v[12:13], v[0:1], s[20:21], -v[70:71]
	v_mul_f64_e32 v[74:75], s[42:43], v[18:19]
	s_delay_alu instid0(VALU_DEP_2) | instskip(NEXT) | instid1(VALU_DEP_2)
	v_add_f64_e32 v[2:3], v[12:13], v[2:3]
	v_fma_f64 v[12:13], v[241:242], s[20:21], v[74:75]
	s_delay_alu instid0(VALU_DEP_1) | instskip(SKIP_1) | instid1(VALU_DEP_1)
	v_add_f64_e32 v[24:25], v[12:13], v[8:9]
	v_add_f64_e32 v[8:9], v[180:181], v[220:221]
	v_fma_f64 v[12:13], v[8:9], s[18:19], -v[50:51]
	s_delay_alu instid0(VALU_DEP_1) | instskip(SKIP_1) | instid1(VALU_DEP_1)
	v_add_f64_e32 v[2:3], v[12:13], v[2:3]
	v_add_f64_e32 v[12:13], v[182:183], v[222:223]
	v_fma_f64 v[26:27], v[12:13], s[18:19], v[22:23]
	s_delay_alu instid0(VALU_DEP_1) | instskip(SKIP_2) | instid1(VALU_DEP_1)
	v_add_f64_e32 v[36:37], v[26:27], v[24:25]
	v_add_f64_e32 v[24:25], v[188:189], v[216:217]
	v_mul_f64_e32 v[26:27], s[26:27], v[44:45]
	v_fma_f64 v[28:29], v[24:25], s[16:17], -v[26:27]
	s_delay_alu instid0(VALU_DEP_1) | instskip(SKIP_1) | instid1(VALU_DEP_1)
	v_add_f64_e32 v[2:3], v[28:29], v[2:3]
	v_add_f64_e32 v[28:29], v[190:191], v[218:219]
	v_fma_f64 v[38:39], v[28:29], s[16:17], v[30:31]
	s_delay_alu instid0(VALU_DEP_1) | instskip(SKIP_2) | instid1(VALU_DEP_1)
	v_add_f64_e32 v[48:49], v[38:39], v[36:37]
	v_add_f64_e32 v[36:37], v[192:193], v[212:213]
	v_mul_f64_e32 v[38:39], s[28:29], v[60:61]
	;; [unrolled: 9-line block ×3, first 2 shown]
	v_fma_f64 v[54:55], v[48:49], s[12:13], -v[52:53]
	s_delay_alu instid0(VALU_DEP_1) | instskip(SKIP_1) | instid1(VALU_DEP_1)
	v_add_f64_e32 v[2:3], v[54:55], v[2:3]
	v_add_f64_e32 v[54:55], v[198:199], v[210:211]
	v_fma_f64 v[66:67], v[54:55], s[12:13], v[56:57]
	s_delay_alu instid0(VALU_DEP_1) | instskip(SKIP_2) | instid1(VALU_DEP_2)
	v_add_f64_e32 v[78:79], v[66:67], v[64:65]
	v_add_f64_e32 v[64:65], v[200:201], v[204:205]
	v_mul_f64_e32 v[66:67], s[36:37], v[231:232]
	v_fma_f64 v[82:83], v[64:65], s[24:25], -v[80:81]
	s_delay_alu instid0(VALU_DEP_2) | instskip(SKIP_1) | instid1(VALU_DEP_2)
	v_fma_f64 v[68:69], v[64:65], s[2:3], -v[66:67]
	v_fma_f64 v[80:81], v[64:65], s[24:25], v[80:81]
	v_add_f64_e32 v[76:77], v[68:69], v[2:3]
	v_add_f64_e32 v[68:69], v[202:203], v[206:207]
	v_mul_f64_e32 v[2:3], s[36:37], v[229:230]
	s_delay_alu instid0(VALU_DEP_1) | instskip(SKIP_1) | instid1(VALU_DEP_2)
	v_fma_f64 v[184:185], v[68:69], s[2:3], v[2:3]
	v_fma_f64 v[2:3], v[68:69], s[2:3], -v[2:3]
	v_add_f64_e32 v[78:79], v[184:185], v[78:79]
	v_mul_f64_e32 v[184:185], s[38:39], v[4:5]
	s_delay_alu instid0(VALU_DEP_1) | instskip(NEXT) | instid1(VALU_DEP_1)
	v_fma_f64 v[186:187], v[245:246], s[18:19], -v[184:185]
	v_add_f64_e32 v[138:139], v[186:187], v[138:139]
	v_mul_f64_e32 v[186:187], s[38:39], v[6:7]
	s_delay_alu instid0(VALU_DEP_1) | instskip(NEXT) | instid1(VALU_DEP_1)
	v_fma_f64 v[233:234], v[249:250], s[18:19], v[186:187]
	v_add_f64_e32 v[136:137], v[233:234], v[136:137]
	v_mul_f64_e32 v[233:234], s[28:29], v[16:17]
	s_delay_alu instid0(VALU_DEP_1) | instskip(NEXT) | instid1(VALU_DEP_1)
	v_fma_f64 v[235:236], v[0:1], s[14:15], -v[233:234]
	v_add_f64_e32 v[138:139], v[235:236], v[138:139]
	v_mul_f64_e32 v[235:236], s[28:29], v[18:19]
	s_delay_alu instid0(VALU_DEP_1) | instskip(NEXT) | instid1(VALU_DEP_1)
	v_fma_f64 v[251:252], v[241:242], s[14:15], v[235:236]
	;; [unrolled: 8-line block ×5, first 2 shown]
	v_add_f64_e32 v[136:137], v[158:159], v[136:137]
	v_mul_f64_e32 v[158:159], s[44:45], v[72:73]
	s_delay_alu instid0(VALU_DEP_1) | instskip(SKIP_1) | instid1(VALU_DEP_2)
	v_fma_f64 v[160:161], v[48:49], s[20:21], -v[158:159]
	v_fma_f64 v[158:159], v[48:49], s[20:21], v[158:159]
	v_add_f64_e32 v[138:139], v[160:161], v[138:139]
	v_mul_f64_e32 v[160:161], s[44:45], v[237:238]
	s_delay_alu instid0(VALU_DEP_1) | instskip(NEXT) | instid1(VALU_DEP_1)
	v_fma_f64 v[162:163], v[54:55], s[20:21], v[160:161]
	v_add_f64_e32 v[162:163], v[162:163], v[136:137]
	s_delay_alu instid0(VALU_DEP_4) | instskip(SKIP_1) | instid1(VALU_DEP_1)
	v_add_f64_e32 v[136:137], v[82:83], v[138:139]
	v_mul_f64_e32 v[82:83], s[46:47], v[229:230]
	v_fma_f64 v[138:139], v[68:69], s[24:25], v[82:83]
	v_fma_f64 v[82:83], v[68:69], s[24:25], -v[82:83]
	s_delay_alu instid0(VALU_DEP_2) | instskip(SKIP_1) | instid1(VALU_DEP_1)
	v_add_f64_e32 v[138:139], v[138:139], v[162:163]
	v_fma_f64 v[162:163], v[245:246], s[18:19], v[184:185]
	v_add_f64_e32 v[154:155], v[162:163], v[154:155]
	v_fma_f64 v[162:163], v[249:250], s[18:19], -v[186:187]
	s_delay_alu instid0(VALU_DEP_1) | instskip(SKIP_2) | instid1(VALU_DEP_2)
	v_add_f64_e32 v[146:147], v[162:163], v[146:147]
	v_fma_f64 v[162:163], v[0:1], s[14:15], v[233:234]
	v_mul_f64_e32 v[233:234], s[34:35], v[62:63]
	v_add_f64_e32 v[154:155], v[162:163], v[154:155]
	v_fma_f64 v[162:163], v[241:242], s[14:15], -v[235:236]
	v_mul_f64_e32 v[235:236], s[38:39], v[72:73]
	s_delay_alu instid0(VALU_DEP_2) | instskip(SKIP_2) | instid1(VALU_DEP_2)
	v_add_f64_e32 v[146:147], v[162:163], v[146:147]
	v_fma_f64 v[162:163], v[8:9], s[2:3], v[251:252]
	v_mul_f64_e32 v[251:252], s[38:39], v[237:238]
	v_add_f64_e32 v[154:155], v[162:163], v[154:155]
	v_fma_f64 v[162:163], v[12:13], s[2:3], -v[253:254]
	v_mul_f64_e32 v[253:254], s[30:31], v[231:232]
	s_delay_alu instid0(VALU_DEP_2) | instskip(SKIP_2) | instid1(VALU_DEP_2)
	;; [unrolled: 7-line block ×3, first 2 shown]
	v_add_f64_e32 v[146:147], v[162:163], v[146:147]
	v_fma_f64 v[162:163], v[36:37], s[16:17], v[166:167]
	v_mul_f64_e32 v[166:167], s[48:49], v[44:45]
	v_add_f64_e32 v[154:155], v[162:163], v[154:155]
	v_fma_f64 v[162:163], v[40:41], s[16:17], -v[164:165]
	v_mul_f64_e32 v[164:165], s[52:53], v[34:35]
	s_delay_alu instid0(VALU_DEP_3) | instskip(NEXT) | instid1(VALU_DEP_3)
	v_add_f64_e32 v[154:155], v[158:159], v[154:155]
	v_add_f64_e32 v[146:147], v[162:163], v[146:147]
	v_fma_f64 v[158:159], v[54:55], s[20:21], -v[160:161]
	v_mul_f64_e32 v[160:161], s[58:59], v[18:19]
	v_mul_f64_e32 v[162:163], s[52:53], v[32:33]
	v_add_f64_e32 v[184:185], v[80:81], v[154:155]
	v_mul_f64_e32 v[80:81], s[28:29], v[4:5]
	v_add_f64_e32 v[146:147], v[158:159], v[146:147]
	v_mul_f64_e32 v[154:155], s[28:29], v[6:7]
	v_mul_f64_e32 v[158:159], s[58:59], v[16:17]
	s_delay_alu instid0(VALU_DEP_3) | instskip(SKIP_2) | instid1(VALU_DEP_2)
	v_add_f64_e32 v[186:187], v[82:83], v[146:147]
	v_fma_f64 v[82:83], v[245:246], s[14:15], -v[80:81]
	v_fma_f64 v[80:81], v[245:246], s[14:15], v[80:81]
	v_add_f64_e32 v[82:83], v[82:83], v[144:145]
	v_fma_f64 v[144:145], v[249:250], s[14:15], v[154:155]
	s_delay_alu instid0(VALU_DEP_3) | instskip(SKIP_1) | instid1(VALU_DEP_3)
	v_add_f64_e32 v[80:81], v[80:81], v[140:141]
	v_fma_f64 v[140:141], v[249:250], s[14:15], -v[154:155]
	v_add_f64_e32 v[142:143], v[144:145], v[142:143]
	v_fma_f64 v[144:145], v[0:1], s[2:3], -v[158:159]
	s_delay_alu instid0(VALU_DEP_3) | instskip(SKIP_2) | instid1(VALU_DEP_4)
	v_add_f64_e32 v[58:59], v[140:141], v[58:59]
	v_fma_f64 v[140:141], v[0:1], s[2:3], v[158:159]
	v_mul_f64_e32 v[158:159], s[52:53], v[16:17]
	v_add_f64_e32 v[82:83], v[144:145], v[82:83]
	v_fma_f64 v[144:145], v[241:242], s[2:3], v[160:161]
	s_delay_alu instid0(VALU_DEP_4) | instskip(SKIP_2) | instid1(VALU_DEP_4)
	v_add_f64_e32 v[80:81], v[140:141], v[80:81]
	v_fma_f64 v[140:141], v[241:242], s[2:3], -v[160:161]
	v_mul_f64_e32 v[160:161], s[52:53], v[18:19]
	v_add_f64_e32 v[142:143], v[144:145], v[142:143]
	v_fma_f64 v[144:145], v[8:9], s[16:17], -v[162:163]
	s_delay_alu instid0(VALU_DEP_4) | instskip(SKIP_2) | instid1(VALU_DEP_4)
	v_add_f64_e32 v[58:59], v[140:141], v[58:59]
	v_fma_f64 v[140:141], v[8:9], s[16:17], v[162:163]
	v_mul_f64_e32 v[162:163], s[46:47], v[32:33]
	v_add_f64_e32 v[82:83], v[144:145], v[82:83]
	v_fma_f64 v[144:145], v[12:13], s[16:17], v[164:165]
	s_delay_alu instid0(VALU_DEP_4) | instskip(SKIP_2) | instid1(VALU_DEP_4)
	v_add_f64_e32 v[80:81], v[140:141], v[80:81]
	v_fma_f64 v[140:141], v[12:13], s[16:17], -v[164:165]
	v_mul_f64_e32 v[164:165], s[46:47], v[34:35]
	v_add_f64_e32 v[142:143], v[144:145], v[142:143]
	v_fma_f64 v[144:145], v[24:25], s[22:23], -v[166:167]
	s_delay_alu instid0(VALU_DEP_4) | instskip(SKIP_2) | instid1(VALU_DEP_4)
	;; [unrolled: 12-line block ×5, first 2 shown]
	v_add_f64_e32 v[58:59], v[140:141], v[58:59]
	v_fma_f64 v[140:141], v[64:65], s[12:13], v[253:254]
	v_mul_f64_e32 v[253:254], s[48:49], v[231:232]
	v_add_f64_e32 v[144:145], v[144:145], v[82:83]
	v_mul_f64_e32 v[82:83], s[30:31], v[229:230]
	s_delay_alu instid0(VALU_DEP_4) | instskip(NEXT) | instid1(VALU_DEP_2)
	v_add_f64_e32 v[140:141], v[140:141], v[80:81]
	v_fma_f64 v[146:147], v[68:69], s[12:13], v[82:83]
	v_fma_f64 v[82:83], v[68:69], s[12:13], -v[82:83]
	s_delay_alu instid0(VALU_DEP_2) | instskip(NEXT) | instid1(VALU_DEP_2)
	v_add_f64_e32 v[146:147], v[146:147], v[142:143]
	v_add_f64_e32 v[142:143], v[82:83], v[58:59]
	v_mul_f64_e32 v[58:59], s[36:37], v[4:5]
	v_mul_f64_e32 v[82:83], s[36:37], v[6:7]
	s_delay_alu instid0(VALU_DEP_2) | instskip(SKIP_1) | instid1(VALU_DEP_2)
	v_fma_f64 v[80:81], v[245:246], s[2:3], -v[58:59]
	v_fma_f64 v[58:59], v[245:246], s[2:3], v[58:59]
	v_add_f64_e32 v[80:81], v[80:81], v[148:149]
	s_delay_alu instid0(VALU_DEP_4) | instskip(NEXT) | instid1(VALU_DEP_3)
	v_fma_f64 v[148:149], v[249:250], s[2:3], v[82:83]
	v_add_f64_e32 v[58:59], v[58:59], v[150:151]
	v_fma_f64 v[82:83], v[249:250], s[2:3], -v[82:83]
	s_delay_alu instid0(VALU_DEP_3) | instskip(SKIP_1) | instid1(VALU_DEP_3)
	v_add_f64_e32 v[148:149], v[148:149], v[152:153]
	v_fma_f64 v[152:153], v[0:1], s[16:17], -v[158:159]
	v_add_f64_e32 v[82:83], v[82:83], v[156:157]
	s_delay_alu instid0(VALU_DEP_2) | instskip(SKIP_1) | instid1(VALU_DEP_1)
	v_add_f64_e32 v[80:81], v[152:153], v[80:81]
	v_fma_f64 v[152:153], v[241:242], s[16:17], v[160:161]
	v_add_f64_e32 v[148:149], v[152:153], v[148:149]
	v_fma_f64 v[152:153], v[8:9], s[24:25], -v[162:163]
	s_delay_alu instid0(VALU_DEP_1) | instskip(SKIP_1) | instid1(VALU_DEP_1)
	v_add_f64_e32 v[80:81], v[152:153], v[80:81]
	v_fma_f64 v[152:153], v[12:13], s[24:25], v[164:165]
	v_add_f64_e32 v[148:149], v[152:153], v[148:149]
	v_fma_f64 v[152:153], v[24:25], s[20:21], -v[166:167]
	s_delay_alu instid0(VALU_DEP_1) | instskip(SKIP_1) | instid1(VALU_DEP_1)
	;; [unrolled: 5-line block ×5, first 2 shown]
	v_add_f64_e32 v[152:153], v[152:153], v[80:81]
	v_mul_f64_e32 v[80:81], s[48:49], v[229:230]
	v_fma_f64 v[154:155], v[68:69], s[22:23], v[80:81]
	v_fma_f64 v[80:81], v[68:69], s[22:23], -v[80:81]
	s_delay_alu instid0(VALU_DEP_2) | instskip(SKIP_2) | instid1(VALU_DEP_2)
	v_add_f64_e32 v[154:155], v[154:155], v[148:149]
	v_fma_f64 v[148:149], v[0:1], s[16:17], v[158:159]
	v_mul_f64_e32 v[158:159], s[48:49], v[16:17]
	v_add_f64_e32 v[58:59], v[148:149], v[58:59]
	v_fma_f64 v[148:149], v[241:242], s[16:17], -v[160:161]
	s_delay_alu instid0(VALU_DEP_3) | instskip(NEXT) | instid1(VALU_DEP_2)
	v_fma_f64 v[160:161], v[0:1], s[22:23], -v[158:159]
	v_add_f64_e32 v[82:83], v[148:149], v[82:83]
	v_fma_f64 v[148:149], v[8:9], s[24:25], v[162:163]
	s_delay_alu instid0(VALU_DEP_1) | instskip(SKIP_2) | instid1(VALU_DEP_2)
	v_add_f64_e32 v[58:59], v[148:149], v[58:59]
	v_fma_f64 v[148:149], v[12:13], s[24:25], -v[164:165]
	v_mul_f64_e32 v[164:165], s[48:49], v[18:19]
	v_add_f64_e32 v[82:83], v[148:149], v[82:83]
	v_fma_f64 v[148:149], v[24:25], s[20:21], v[166:167]
	v_mul_f64_e32 v[166:167], s[42:43], v[32:33]
	s_delay_alu instid0(VALU_DEP_2) | instskip(SKIP_2) | instid1(VALU_DEP_2)
	v_add_f64_e32 v[58:59], v[148:149], v[58:59]
	v_fma_f64 v[148:149], v[28:29], s[20:21], -v[168:169]
	v_mul_f64_e32 v[168:169], s[42:43], v[34:35]
	v_add_f64_e32 v[82:83], v[148:149], v[82:83]
	v_fma_f64 v[148:149], v[36:37], s[12:13], v[170:171]
	v_mul_f64_e32 v[170:171], s[36:37], v[44:45]
	s_delay_alu instid0(VALU_DEP_2) | instskip(SKIP_2) | instid1(VALU_DEP_2)
	;; [unrolled: 7-line block ×3, first 2 shown]
	v_add_f64_e32 v[58:59], v[148:149], v[58:59]
	v_fma_f64 v[148:149], v[54:55], s[14:15], -v[251:252]
	v_mul_f64_e32 v[251:252], s[50:51], v[62:63]
	v_add_f64_e32 v[82:83], v[148:149], v[82:83]
	v_fma_f64 v[148:149], v[64:65], s[22:23], v[253:254]
	v_mul_f64_e32 v[253:254], s[34:35], v[72:73]
	s_delay_alu instid0(VALU_DEP_3) | instskip(NEXT) | instid1(VALU_DEP_3)
	v_add_f64_e32 v[150:151], v[80:81], v[82:83]
	v_add_f64_e32 v[148:149], v[148:149], v[58:59]
	v_mul_f64_e32 v[58:59], s[56:57], v[4:5]
	v_mul_f64_e32 v[82:83], s[56:57], v[6:7]
	s_delay_alu instid0(VALU_DEP_2) | instskip(NEXT) | instid1(VALU_DEP_2)
	v_fma_f64 v[80:81], v[245:246], s[12:13], -v[58:59]
	v_fma_f64 v[156:157], v[249:250], s[12:13], v[82:83]
	v_fma_f64 v[58:59], v[245:246], s[12:13], v[58:59]
	v_fma_f64 v[82:83], v[249:250], s[12:13], -v[82:83]
	s_delay_alu instid0(VALU_DEP_4) | instskip(NEXT) | instid1(VALU_DEP_4)
	v_add_f64_e32 v[80:81], v[80:81], v[86:87]
	v_add_f64_e32 v[156:157], v[156:157], v[84:85]
	v_mul_f64_e32 v[84:85], s[34:35], v[237:238]
	v_add_f64_e32 v[58:59], v[58:59], v[94:95]
	v_add_f64_e32 v[82:83], v[82:83], v[92:93]
	v_mul_f64_e32 v[92:93], s[36:37], v[237:238]
	v_add_f64_e32 v[80:81], v[160:161], v[80:81]
	v_fma_f64 v[160:161], v[241:242], s[22:23], v[164:165]
	v_fma_f64 v[86:87], v[54:55], s[24:25], v[84:85]
	v_fma_f64 v[84:85], v[54:55], s[24:25], -v[84:85]
	v_fma_f64 v[94:95], v[54:55], s[2:3], v[92:93]
	s_delay_alu instid0(VALU_DEP_4) | instskip(SKIP_1) | instid1(VALU_DEP_1)
	v_add_f64_e32 v[156:157], v[160:161], v[156:157]
	v_fma_f64 v[160:161], v[8:9], s[20:21], -v[166:167]
	v_add_f64_e32 v[80:81], v[160:161], v[80:81]
	v_fma_f64 v[160:161], v[12:13], s[20:21], v[168:169]
	s_delay_alu instid0(VALU_DEP_1) | instskip(SKIP_1) | instid1(VALU_DEP_1)
	v_add_f64_e32 v[156:157], v[160:161], v[156:157]
	v_fma_f64 v[160:161], v[24:25], s[2:3], -v[170:171]
	v_add_f64_e32 v[80:81], v[160:161], v[80:81]
	v_fma_f64 v[160:161], v[28:29], s[2:3], v[233:234]
	s_delay_alu instid0(VALU_DEP_1) | instskip(SKIP_1) | instid1(VALU_DEP_1)
	v_add_f64_e32 v[156:157], v[160:161], v[156:157]
	v_fma_f64 v[160:161], v[36:37], s[18:19], -v[235:236]
	v_add_f64_e32 v[80:81], v[160:161], v[80:81]
	v_fma_f64 v[160:161], v[40:41], s[18:19], v[251:252]
	s_delay_alu instid0(VALU_DEP_1) | instskip(SKIP_1) | instid1(VALU_DEP_2)
	v_add_f64_e32 v[156:157], v[160:161], v[156:157]
	v_fma_f64 v[160:161], v[48:49], s[24:25], -v[253:254]
	v_add_f64_e32 v[86:87], v[86:87], v[156:157]
	v_mul_f64_e32 v[156:157], s[28:29], v[231:232]
	s_delay_alu instid0(VALU_DEP_3) | instskip(NEXT) | instid1(VALU_DEP_2)
	v_add_f64_e32 v[80:81], v[160:161], v[80:81]
	v_fma_f64 v[160:161], v[64:65], s[14:15], -v[156:157]
	s_delay_alu instid0(VALU_DEP_1) | instskip(SKIP_1) | instid1(VALU_DEP_1)
	v_add_f64_e32 v[160:161], v[160:161], v[80:81]
	v_mul_f64_e32 v[80:81], s[28:29], v[229:230]
	v_fma_f64 v[162:163], v[68:69], s[14:15], v[80:81]
	v_fma_f64 v[80:81], v[68:69], s[14:15], -v[80:81]
	s_delay_alu instid0(VALU_DEP_2) | instskip(SKIP_1) | instid1(VALU_DEP_1)
	v_add_f64_e32 v[162:163], v[162:163], v[86:87]
	v_fma_f64 v[86:87], v[0:1], s[22:23], v[158:159]
	v_add_f64_e32 v[58:59], v[86:87], v[58:59]
	v_fma_f64 v[86:87], v[241:242], s[22:23], -v[164:165]
	s_delay_alu instid0(VALU_DEP_1) | instskip(SKIP_1) | instid1(VALU_DEP_1)
	v_add_f64_e32 v[82:83], v[86:87], v[82:83]
	v_fma_f64 v[86:87], v[8:9], s[20:21], v[166:167]
	v_add_f64_e32 v[58:59], v[86:87], v[58:59]
	v_fma_f64 v[86:87], v[12:13], s[20:21], -v[168:169]
	v_mul_f64_e32 v[168:169], s[34:35], v[18:19]
	s_delay_alu instid0(VALU_DEP_2) | instskip(SKIP_2) | instid1(VALU_DEP_2)
	v_add_f64_e32 v[82:83], v[86:87], v[82:83]
	v_fma_f64 v[86:87], v[24:25], s[2:3], v[170:171]
	v_mul_f64_e32 v[170:171], s[30:31], v[32:33]
	v_add_f64_e32 v[58:59], v[86:87], v[58:59]
	v_fma_f64 v[86:87], v[28:29], s[2:3], -v[233:234]
	v_mul_f64_e32 v[233:234], s[30:31], v[34:35]
	s_delay_alu instid0(VALU_DEP_2) | instskip(SKIP_2) | instid1(VALU_DEP_2)
	v_add_f64_e32 v[82:83], v[86:87], v[82:83]
	v_fma_f64 v[86:87], v[36:37], s[18:19], v[235:236]
	v_mul_f64_e32 v[235:236], s[50:51], v[44:45]
	v_add_f64_e32 v[58:59], v[86:87], v[58:59]
	v_fma_f64 v[86:87], v[40:41], s[18:19], -v[251:252]
	v_mul_f64_e32 v[251:252], s[50:51], v[46:47]
	s_delay_alu instid0(VALU_DEP_2) | instskip(SKIP_2) | instid1(VALU_DEP_3)
	v_add_f64_e32 v[82:83], v[86:87], v[82:83]
	v_fma_f64 v[86:87], v[48:49], s[24:25], v[253:254]
	v_mul_f64_e32 v[253:254], s[40:41], v[60:61]
	v_add_f64_e32 v[82:83], v[84:85], v[82:83]
	s_delay_alu instid0(VALU_DEP_3) | instskip(SKIP_2) | instid1(VALU_DEP_4)
	v_add_f64_e32 v[58:59], v[86:87], v[58:59]
	v_fma_f64 v[84:85], v[64:65], s[14:15], v[156:157]
	v_mul_f64_e32 v[86:87], s[34:35], v[16:17]
	v_add_f64_e32 v[158:159], v[80:81], v[82:83]
	v_mul_f64_e32 v[82:83], s[52:53], v[6:7]
	s_delay_alu instid0(VALU_DEP_4) | instskip(SKIP_2) | instid1(VALU_DEP_4)
	v_add_f64_e32 v[156:157], v[84:85], v[58:59]
	v_mul_f64_e32 v[58:59], s[52:53], v[4:5]
	v_fma_f64 v[164:165], v[0:1], s[24:25], -v[86:87]
	v_fma_f64 v[84:85], v[249:250], s[16:17], v[82:83]
	v_fma_f64 v[82:83], v[249:250], s[16:17], -v[82:83]
	s_delay_alu instid0(VALU_DEP_4) | instskip(SKIP_1) | instid1(VALU_DEP_4)
	v_fma_f64 v[80:81], v[245:246], s[16:17], -v[58:59]
	v_fma_f64 v[58:59], v[245:246], s[16:17], v[58:59]
	v_add_f64_e32 v[84:85], v[84:85], v[88:89]
	v_mul_f64_e32 v[88:89], s[40:41], v[62:63]
	s_delay_alu instid0(VALU_DEP_4) | instskip(NEXT) | instid1(VALU_DEP_4)
	v_add_f64_e32 v[80:81], v[80:81], v[90:91]
	v_add_f64_e32 v[58:59], v[58:59], v[102:103]
	;; [unrolled: 1-line block ×3, first 2 shown]
	v_mul_f64_e32 v[100:101], s[48:49], v[237:238]
	v_fma_f64 v[90:91], v[40:41], s[22:23], v[88:89]
	v_add_f64_e32 v[80:81], v[164:165], v[80:81]
	v_fma_f64 v[164:165], v[241:242], s[24:25], v[168:169]
	s_delay_alu instid0(VALU_DEP_4) | instskip(NEXT) | instid1(VALU_DEP_2)
	v_fma_f64 v[102:103], v[54:55], s[22:23], v[100:101]
	v_add_f64_e32 v[84:85], v[164:165], v[84:85]
	v_fma_f64 v[164:165], v[8:9], s[12:13], -v[170:171]
	s_delay_alu instid0(VALU_DEP_1) | instskip(SKIP_1) | instid1(VALU_DEP_1)
	v_add_f64_e32 v[80:81], v[164:165], v[80:81]
	v_fma_f64 v[164:165], v[12:13], s[12:13], v[233:234]
	v_add_f64_e32 v[84:85], v[164:165], v[84:85]
	v_fma_f64 v[164:165], v[24:25], s[18:19], -v[235:236]
	s_delay_alu instid0(VALU_DEP_1) | instskip(SKIP_1) | instid1(VALU_DEP_1)
	v_add_f64_e32 v[80:81], v[164:165], v[80:81]
	v_fma_f64 v[164:165], v[28:29], s[18:19], v[251:252]
	v_add_f64_e32 v[84:85], v[164:165], v[84:85]
	v_fma_f64 v[164:165], v[36:37], s[22:23], -v[253:254]
	s_delay_alu instid0(VALU_DEP_2) | instskip(SKIP_1) | instid1(VALU_DEP_3)
	v_add_f64_e32 v[84:85], v[90:91], v[84:85]
	v_mul_f64_e32 v[90:91], s[36:37], v[72:73]
	v_add_f64_e32 v[80:81], v[164:165], v[80:81]
	s_delay_alu instid0(VALU_DEP_3) | instskip(NEXT) | instid1(VALU_DEP_3)
	v_add_f64_e32 v[84:85], v[94:95], v[84:85]
	v_fma_f64 v[164:165], v[48:49], s[2:3], -v[90:91]
	v_mul_f64_e32 v[94:95], s[44:45], v[231:232]
	s_delay_alu instid0(VALU_DEP_2) | instskip(NEXT) | instid1(VALU_DEP_2)
	v_add_f64_e32 v[80:81], v[164:165], v[80:81]
	v_fma_f64 v[164:165], v[64:65], s[20:21], -v[94:95]
	s_delay_alu instid0(VALU_DEP_1) | instskip(SKIP_1) | instid1(VALU_DEP_1)
	v_add_f64_e32 v[164:165], v[164:165], v[80:81]
	v_mul_f64_e32 v[80:81], s[44:45], v[229:230]
	v_fma_f64 v[166:167], v[68:69], s[20:21], v[80:81]
	v_fma_f64 v[80:81], v[68:69], s[20:21], -v[80:81]
	s_delay_alu instid0(VALU_DEP_2) | instskip(SKIP_3) | instid1(VALU_DEP_3)
	v_add_f64_e32 v[166:167], v[166:167], v[84:85]
	v_fma_f64 v[84:85], v[0:1], s[24:25], v[86:87]
	v_mul_f64_e32 v[86:87], s[38:39], v[16:17]
	v_mul_f64_e32 v[16:17], s[30:31], v[16:17]
	v_add_f64_e32 v[58:59], v[84:85], v[58:59]
	v_fma_f64 v[84:85], v[241:242], s[24:25], -v[168:169]
	s_delay_alu instid0(VALU_DEP_1) | instskip(SKIP_1) | instid1(VALU_DEP_1)
	v_add_f64_e32 v[82:83], v[84:85], v[82:83]
	v_fma_f64 v[84:85], v[8:9], s[12:13], v[170:171]
	v_add_f64_e32 v[58:59], v[84:85], v[58:59]
	v_fma_f64 v[84:85], v[12:13], s[12:13], -v[233:234]
	s_delay_alu instid0(VALU_DEP_1) | instskip(SKIP_1) | instid1(VALU_DEP_1)
	v_add_f64_e32 v[82:83], v[84:85], v[82:83]
	v_fma_f64 v[84:85], v[24:25], s[18:19], v[235:236]
	v_add_f64_e32 v[58:59], v[84:85], v[58:59]
	v_fma_f64 v[84:85], v[28:29], s[18:19], -v[251:252]
	v_mul_f64_e32 v[251:252], s[34:35], v[46:47]
	v_mul_f64_e32 v[46:47], s[28:29], v[46:47]
	s_delay_alu instid0(VALU_DEP_3) | instskip(SKIP_3) | instid1(VALU_DEP_3)
	v_add_f64_e32 v[82:83], v[84:85], v[82:83]
	v_fma_f64 v[84:85], v[36:37], s[22:23], v[253:254]
	v_mul_f64_e32 v[253:254], s[36:37], v[60:61]
	v_mul_f64_e32 v[60:61], s[44:45], v[60:61]
	v_add_f64_e32 v[58:59], v[84:85], v[58:59]
	v_fma_f64 v[84:85], v[40:41], s[22:23], -v[88:89]
	v_fma_f64 v[88:89], v[0:1], s[18:19], -v[86:87]
	s_delay_alu instid0(VALU_DEP_2) | instskip(SKIP_1) | instid1(VALU_DEP_1)
	v_add_f64_e32 v[82:83], v[84:85], v[82:83]
	v_fma_f64 v[84:85], v[48:49], s[2:3], v[90:91]
	v_add_f64_e32 v[58:59], v[84:85], v[58:59]
	v_fma_f64 v[84:85], v[54:55], s[2:3], -v[92:93]
	s_delay_alu instid0(VALU_DEP_1) | instskip(SKIP_1) | instid1(VALU_DEP_2)
	v_add_f64_e32 v[82:83], v[84:85], v[82:83]
	v_fma_f64 v[84:85], v[64:65], s[20:21], v[94:95]
	v_add_f64_e32 v[170:171], v[80:81], v[82:83]
	s_delay_alu instid0(VALU_DEP_2) | instskip(SKIP_2) | instid1(VALU_DEP_2)
	v_add_f64_e32 v[168:169], v[84:85], v[58:59]
	v_mul_f64_e32 v[58:59], s[44:45], v[4:5]
	v_mul_f64_e32 v[82:83], s[44:45], v[6:7]
	v_fma_f64 v[80:81], v[245:246], s[20:21], -v[58:59]
	s_delay_alu instid0(VALU_DEP_2) | instskip(SKIP_2) | instid1(VALU_DEP_4)
	v_fma_f64 v[84:85], v[249:250], s[20:21], v[82:83]
	v_fma_f64 v[58:59], v[245:246], s[20:21], v[58:59]
	v_fma_f64 v[82:83], v[249:250], s[20:21], -v[82:83]
	v_add_f64_e32 v[80:81], v[80:81], v[98:99]
	s_delay_alu instid0(VALU_DEP_4) | instskip(SKIP_2) | instid1(VALU_DEP_4)
	v_add_f64_e32 v[84:85], v[84:85], v[96:97]
	v_mul_f64_e32 v[96:97], s[36:37], v[62:63]
	v_mul_f64_e32 v[62:63], s[44:45], v[62:63]
	v_add_f64_e32 v[80:81], v[88:89], v[80:81]
	v_mul_f64_e32 v[88:89], s[38:39], v[18:19]
	s_delay_alu instid0(VALU_DEP_4) | instskip(SKIP_1) | instid1(VALU_DEP_3)
	v_fma_f64 v[98:99], v[40:41], s[2:3], v[96:97]
	v_mul_f64_e32 v[18:19], s[30:31], v[18:19]
	v_fma_f64 v[90:91], v[241:242], s[18:19], v[88:89]
	s_delay_alu instid0(VALU_DEP_1) | instskip(SKIP_2) | instid1(VALU_DEP_2)
	v_add_f64_e32 v[84:85], v[90:91], v[84:85]
	v_mul_f64_e32 v[90:91], s[54:55], v[32:33]
	v_mul_f64_e32 v[32:33], s[48:49], v[32:33]
	v_fma_f64 v[92:93], v[8:9], s[14:15], -v[90:91]
	s_delay_alu instid0(VALU_DEP_1) | instskip(SKIP_2) | instid1(VALU_DEP_2)
	v_add_f64_e32 v[80:81], v[92:93], v[80:81]
	v_mul_f64_e32 v[92:93], s[54:55], v[34:35]
	v_mul_f64_e32 v[34:35], s[48:49], v[34:35]
	v_fma_f64 v[94:95], v[12:13], s[14:15], v[92:93]
	s_delay_alu instid0(VALU_DEP_1) | instskip(SKIP_2) | instid1(VALU_DEP_2)
	v_add_f64_e32 v[84:85], v[94:95], v[84:85]
	v_mul_f64_e32 v[94:95], s[34:35], v[44:45]
	v_mul_f64_e32 v[44:45], s[28:29], v[44:45]
	v_fma_f64 v[233:234], v[24:25], s[24:25], -v[94:95]
	s_delay_alu instid0(VALU_DEP_1) | instskip(SKIP_1) | instid1(VALU_DEP_1)
	v_add_f64_e32 v[80:81], v[233:234], v[80:81]
	v_fma_f64 v[233:234], v[28:29], s[24:25], v[251:252]
	v_add_f64_e32 v[84:85], v[233:234], v[84:85]
	v_fma_f64 v[233:234], v[36:37], s[2:3], -v[253:254]
	s_delay_alu instid0(VALU_DEP_2) | instskip(SKIP_1) | instid1(VALU_DEP_3)
	v_add_f64_e32 v[84:85], v[98:99], v[84:85]
	v_mul_f64_e32 v[98:99], s[48:49], v[72:73]
	v_add_f64_e32 v[80:81], v[233:234], v[80:81]
	v_mul_f64_e32 v[72:73], s[26:27], v[72:73]
	s_delay_alu instid0(VALU_DEP_4) | instskip(NEXT) | instid1(VALU_DEP_4)
	v_add_f64_e32 v[84:85], v[102:103], v[84:85]
	v_fma_f64 v[233:234], v[48:49], s[22:23], -v[98:99]
	v_mul_f64_e32 v[102:103], s[26:27], v[231:232]
	s_delay_alu instid0(VALU_DEP_2) | instskip(NEXT) | instid1(VALU_DEP_2)
	v_add_f64_e32 v[80:81], v[233:234], v[80:81]
	v_fma_f64 v[233:234], v[64:65], s[16:17], -v[102:103]
	s_delay_alu instid0(VALU_DEP_1) | instskip(SKIP_1) | instid1(VALU_DEP_1)
	v_add_f64_e32 v[233:234], v[233:234], v[80:81]
	v_mul_f64_e32 v[80:81], s[26:27], v[229:230]
	v_fma_f64 v[235:236], v[68:69], s[16:17], v[80:81]
	v_fma_f64 v[80:81], v[68:69], s[16:17], -v[80:81]
	s_delay_alu instid0(VALU_DEP_2)
	v_add_f64_e32 v[235:236], v[235:236], v[84:85]
	scratch_load_b64 v[84:85], off, off offset:516 th:TH_LOAD_LU ; 8-byte Folded Reload
	s_wait_loadcnt 0x0
	v_add_f64_e32 v[58:59], v[58:59], v[84:85]
	scratch_load_b64 v[84:85], off, off offset:508 th:TH_LOAD_LU ; 8-byte Folded Reload
	s_wait_loadcnt 0x0
	v_add_f64_e32 v[82:83], v[82:83], v[84:85]
	v_fma_f64 v[84:85], v[0:1], s[18:19], v[86:87]
	v_mul_f64_e32 v[86:87], s[50:51], v[229:230]
	s_delay_alu instid0(VALU_DEP_2) | instskip(SKIP_1) | instid1(VALU_DEP_1)
	v_add_f64_e32 v[58:59], v[84:85], v[58:59]
	v_fma_f64 v[84:85], v[241:242], s[18:19], -v[88:89]
	v_add_f64_e32 v[82:83], v[84:85], v[82:83]
	v_fma_f64 v[84:85], v[8:9], s[14:15], v[90:91]
	s_delay_alu instid0(VALU_DEP_1) | instskip(SKIP_1) | instid1(VALU_DEP_1)
	v_add_f64_e32 v[58:59], v[84:85], v[58:59]
	v_fma_f64 v[84:85], v[12:13], s[14:15], -v[92:93]
	v_add_f64_e32 v[82:83], v[84:85], v[82:83]
	v_fma_f64 v[84:85], v[24:25], s[24:25], v[94:95]
	s_delay_alu instid0(VALU_DEP_1) | instskip(SKIP_1) | instid1(VALU_DEP_1)
	;; [unrolled: 5-line block ×4, first 2 shown]
	v_add_f64_e32 v[58:59], v[84:85], v[58:59]
	v_fma_f64 v[84:85], v[54:55], s[22:23], -v[100:101]
	v_add_f64_e32 v[82:83], v[84:85], v[82:83]
	v_fma_f64 v[84:85], v[64:65], s[16:17], v[102:103]
	s_delay_alu instid0(VALU_DEP_2)
	v_add_f64_e32 v[253:254], v[80:81], v[82:83]
	s_clause 0x1
	scratch_load_b64 v[80:81], off, off offset:500 th:TH_LOAD_LU
	scratch_load_b64 v[82:83], off, off offset:492 th:TH_LOAD_LU
	v_add_f64_e32 v[251:252], v[84:85], v[58:59]
	v_mul_f64_e32 v[58:59], s[46:47], v[4:5]
	s_delay_alu instid0(VALU_DEP_1) | instskip(SKIP_2) | instid1(VALU_DEP_2)
	v_fma_f64 v[4:5], v[245:246], s[24:25], -v[58:59]
	v_fma_f64 v[58:59], v[245:246], s[24:25], v[58:59]
	s_wait_loadcnt 0x1
	v_add_f64_e32 v[4:5], v[4:5], v[80:81]
	v_mul_f64_e32 v[80:81], s[46:47], v[6:7]
	s_delay_alu instid0(VALU_DEP_1) | instskip(SKIP_2) | instid1(VALU_DEP_2)
	v_fma_f64 v[6:7], v[249:250], s[24:25], v[80:81]
	v_fma_f64 v[80:81], v[249:250], s[24:25], -v[80:81]
	s_wait_loadcnt 0x0
	v_add_f64_e32 v[6:7], v[6:7], v[82:83]
	v_fma_f64 v[82:83], v[0:1], s[12:13], -v[16:17]
	v_fma_f64 v[16:17], v[0:1], s[12:13], v[16:17]
	v_fma_f64 v[0:1], v[0:1], s[20:21], v[70:71]
	s_delay_alu instid0(VALU_DEP_3) | instskip(SKIP_2) | instid1(VALU_DEP_2)
	v_add_f64_e32 v[4:5], v[82:83], v[4:5]
	v_fma_f64 v[82:83], v[241:242], s[12:13], v[18:19]
	v_fma_f64 v[18:19], v[241:242], s[12:13], -v[18:19]
	v_add_f64_e32 v[6:7], v[82:83], v[6:7]
	v_fma_f64 v[82:83], v[8:9], s[22:23], -v[32:33]
	v_fma_f64 v[32:33], v[8:9], s[22:23], v[32:33]
	v_fma_f64 v[8:9], v[8:9], s[18:19], v[50:51]
	s_delay_alu instid0(VALU_DEP_3) | instskip(SKIP_1) | instid1(VALU_DEP_1)
	v_add_f64_e32 v[4:5], v[82:83], v[4:5]
	v_fma_f64 v[82:83], v[12:13], s[22:23], v[34:35]
	v_add_f64_e32 v[6:7], v[82:83], v[6:7]
	v_fma_f64 v[82:83], v[24:25], s[14:15], -v[44:45]
	s_delay_alu instid0(VALU_DEP_1) | instskip(SKIP_1) | instid1(VALU_DEP_1)
	v_add_f64_e32 v[4:5], v[82:83], v[4:5]
	v_fma_f64 v[82:83], v[28:29], s[14:15], v[46:47]
	v_add_f64_e32 v[6:7], v[82:83], v[6:7]
	v_fma_f64 v[82:83], v[36:37], s[20:21], -v[60:61]
	s_delay_alu instid0(VALU_DEP_1) | instskip(SKIP_1) | instid1(VALU_DEP_1)
	;; [unrolled: 5-line block ×3, first 2 shown]
	v_add_f64_e32 v[4:5], v[82:83], v[4:5]
	v_mul_f64_e32 v[82:83], s[26:27], v[237:238]
	v_fma_f64 v[84:85], v[54:55], s[16:17], v[82:83]
	s_delay_alu instid0(VALU_DEP_1) | instskip(SKIP_1) | instid1(VALU_DEP_1)
	v_add_f64_e32 v[6:7], v[84:85], v[6:7]
	v_mul_f64_e32 v[84:85], s[50:51], v[231:232]
	v_fma_f64 v[88:89], v[64:65], s[18:19], -v[84:85]
	s_delay_alu instid0(VALU_DEP_1) | instskip(SKIP_1) | instid1(VALU_DEP_1)
	v_add_f64_e32 v[4:5], v[88:89], v[4:5]
	v_fma_f64 v[88:89], v[68:69], s[18:19], v[86:87]
	v_add_f64_e32 v[6:7], v[88:89], v[6:7]
	scratch_load_b64 v[88:89], off, off offset:476 th:TH_LOAD_LU ; 8-byte Folded Reload
	s_wait_loadcnt 0x0
	v_add_f64_e32 v[58:59], v[58:59], v[88:89]
	scratch_load_b64 v[88:89], off, off offset:484 th:TH_LOAD_LU ; 8-byte Folded Reload
	v_add_f64_e32 v[16:17], v[16:17], v[58:59]
	s_delay_alu instid0(VALU_DEP_1)
	v_add_f64_e32 v[16:17], v[32:33], v[16:17]
	v_fma_f64 v[32:33], v[12:13], s[22:23], -v[34:35]
	v_fma_f64 v[34:35], v[68:69], s[18:19], -v[86:87]
	;; [unrolled: 1-line block ×3, first 2 shown]
	s_wait_loadcnt 0x0
	v_add_f64_e32 v[80:81], v[80:81], v[88:89]
	s_delay_alu instid0(VALU_DEP_1) | instskip(NEXT) | instid1(VALU_DEP_1)
	v_add_f64_e32 v[18:19], v[18:19], v[80:81]
	v_add_f64_e32 v[18:19], v[32:33], v[18:19]
	v_fma_f64 v[32:33], v[24:25], s[14:15], v[44:45]
	scratch_load_b64 v[44:45], off, off offset:428 th:TH_LOAD_LU ; 8-byte Folded Reload
	v_add_f64_e32 v[16:17], v[32:33], v[16:17]
	v_fma_f64 v[32:33], v[28:29], s[14:15], -v[46:47]
	s_delay_alu instid0(VALU_DEP_1) | instskip(SKIP_1) | instid1(VALU_DEP_1)
	v_add_f64_e32 v[18:19], v[32:33], v[18:19]
	v_fma_f64 v[32:33], v[36:37], s[20:21], v[60:61]
	v_add_f64_e32 v[16:17], v[32:33], v[16:17]
	v_fma_f64 v[32:33], v[40:41], s[20:21], -v[62:63]
	s_delay_alu instid0(VALU_DEP_1) | instskip(SKIP_1) | instid1(VALU_DEP_1)
	v_add_f64_e32 v[18:19], v[32:33], v[18:19]
	v_fma_f64 v[32:33], v[48:49], s[16:17], v[72:73]
	v_add_f64_e32 v[16:17], v[32:33], v[16:17]
	v_fma_f64 v[32:33], v[54:55], s[16:17], -v[82:83]
	s_delay_alu instid0(VALU_DEP_1) | instskip(SKIP_1) | instid1(VALU_DEP_2)
	v_add_f64_e32 v[18:19], v[32:33], v[18:19]
	v_fma_f64 v[32:33], v[64:65], s[18:19], v[84:85]
	v_add_f64_e32 v[18:19], v[34:35], v[18:19]
	s_delay_alu instid0(VALU_DEP_2)
	v_add_f64_e32 v[16:17], v[32:33], v[16:17]
	s_clause 0x1
	scratch_load_b64 v[32:33], off, off offset:452 th:TH_LOAD_LU
	scratch_load_b64 v[34:35], off, off offset:460 th:TH_LOAD_LU
	s_wait_loadcnt 0x1
	v_add_f64_e32 v[32:33], v[32:33], v[172:173]
	s_delay_alu instid0(VALU_DEP_1) | instskip(NEXT) | instid1(VALU_DEP_1)
	v_add_f64_e32 v[32:33], v[32:33], v[176:177]
	v_add_f64_e32 v[32:33], v[32:33], v[180:181]
	s_delay_alu instid0(VALU_DEP_1) | instskip(NEXT) | instid1(VALU_DEP_1)
	v_add_f64_e32 v[32:33], v[32:33], v[188:189]
	;; [unrolled: 3-line block ×3, first 2 shown]
                                        ; implicit-def: $vgpr196_vgpr197
	v_add_f64_e32 v[32:33], v[32:33], v[200:201]
	s_delay_alu instid0(VALU_DEP_1) | instskip(NEXT) | instid1(VALU_DEP_1)
	v_add_f64_e32 v[32:33], v[32:33], v[204:205]
	v_add_f64_e32 v[32:33], v[32:33], v[208:209]
	s_delay_alu instid0(VALU_DEP_1) | instskip(NEXT) | instid1(VALU_DEP_1)
	v_add_f64_e32 v[32:33], v[32:33], v[212:213]
	;; [unrolled: 3-line block ×4, first 2 shown]
	v_add_f64_e32 v[32:33], v[32:33], v[10:11]
	scratch_load_b64 v[10:11], off, off offset:468 th:TH_LOAD_LU ; 8-byte Folded Reload
	s_wait_loadcnt 0x0
	v_fma_f64 v[10:11], v[245:246], s[22:23], v[10:11]
	s_delay_alu instid0(VALU_DEP_1) | instskip(SKIP_3) | instid1(VALU_DEP_2)
	v_add_f64_e32 v[10:11], v[10:11], v[44:45]
	scratch_load_b64 v[44:45], off, off offset:444 th:TH_LOAD_LU ; 8-byte Folded Reload
	v_add_f64_e32 v[34:35], v[34:35], v[174:175]
	v_add_f64_e32 v[0:1], v[0:1], v[10:11]
	;; [unrolled: 1-line block ×3, first 2 shown]
	s_delay_alu instid0(VALU_DEP_2) | instskip(NEXT) | instid1(VALU_DEP_2)
	v_add_f64_e32 v[0:1], v[8:9], v[0:1]
	v_add_f64_e32 v[34:35], v[34:35], v[182:183]
	s_delay_alu instid0(VALU_DEP_1) | instskip(NEXT) | instid1(VALU_DEP_1)
	v_add_f64_e32 v[34:35], v[34:35], v[190:191]
	v_add_f64_e32 v[34:35], v[34:35], v[194:195]
	s_delay_alu instid0(VALU_DEP_1) | instskip(NEXT) | instid1(VALU_DEP_1)
	;; [unrolled: 3-line block ×6, first 2 shown]
	v_add_f64_e32 v[20:21], v[34:35], v[20:21]
	v_add_f64_e32 v[34:35], v[20:21], v[14:15]
	v_fma_f64 v[14:15], v[249:250], s[22:23], -v[247:248]
	v_fma_f64 v[20:21], v[241:242], s[20:21], -v[74:75]
	s_wait_loadcnt 0x0
	s_delay_alu instid0(VALU_DEP_2) | instskip(NEXT) | instid1(VALU_DEP_1)
	v_add_f64_e32 v[14:15], v[14:15], v[44:45]
	v_add_f64_e32 v[10:11], v[20:21], v[14:15]
	v_fma_f64 v[14:15], v[24:25], s[16:17], v[26:27]
	v_fma_f64 v[20:21], v[28:29], s[16:17], -v[30:31]
	s_delay_alu instid0(VALU_DEP_3) | instskip(SKIP_1) | instid1(VALU_DEP_4)
	v_add_f64_e32 v[8:9], v[12:13], v[10:11]
	v_fma_f64 v[10:11], v[36:37], s[14:15], v[38:39]
	v_add_f64_e32 v[0:1], v[14:15], v[0:1]
	v_fma_f64 v[14:15], v[48:49], s[12:13], v[52:53]
	v_fma_f64 v[12:13], v[40:41], s[14:15], -v[42:43]
	v_add_f64_e32 v[8:9], v[20:21], v[8:9]
	v_fma_f64 v[20:21], v[54:55], s[12:13], -v[56:57]
	v_add_f64_e32 v[0:1], v[10:11], v[0:1]
	v_fma_f64 v[10:11], v[64:65], s[2:3], v[66:67]
	s_load_b64 s[2:3], s[0:1], 0x38
	s_delay_alu instid0(VALU_DEP_4) | instskip(NEXT) | instid1(VALU_DEP_3)
	v_add_f64_e32 v[8:9], v[12:13], v[8:9]
	v_add_f64_e32 v[0:1], v[14:15], v[0:1]
	s_delay_alu instid0(VALU_DEP_2) | instskip(NEXT) | instid1(VALU_DEP_2)
	v_add_f64_e32 v[8:9], v[20:21], v[8:9]
	v_add_f64_e32 v[180:181], v[10:11], v[0:1]
	scratch_load_b32 v0, off, off offset:4 th:TH_LOAD_LU ; 4-byte Folded Reload
	global_wb scope:SCOPE_SE
	s_wait_loadcnt 0x0
	s_wait_storecnt 0x0
	s_wait_kmcnt 0x0
	s_barrier_signal -1
	s_barrier_wait -1
	global_inv scope:SCOPE_SE
	v_add_f64_e32 v[182:183], v[2:3], v[8:9]
	v_and_b32_e32 v0, 0xffff, v0
	s_delay_alu instid0(VALU_DEP_1) | instskip(NEXT) | instid1(VALU_DEP_1)
	v_mul_u32_u24_e32 v0, 0x121, v0
	v_add_lshl_u32 v241, v0, v244, 4
	ds_store_b128 v241, v[136:139] offset:544
	ds_store_b128 v241, v[144:147] offset:816
	;; [unrolled: 1-line block ×14, first 2 shown]
	ds_store_b128 v241, v[32:35]
	ds_store_b128 v241, v[184:187] offset:4080
	ds_store_b128 v241, v[180:183] offset:4352
	global_wb scope:SCOPE_SE
	s_wait_dscnt 0x0
	s_barrier_signal -1
	s_barrier_wait -1
	global_inv scope:SCOPE_SE
	ds_load_b128 v[208:211], v255
	ds_load_b128 v[204:207], v255 offset:816
	ds_load_b128 v[144:147], v255 offset:9248
	;; [unrolled: 1-line block ×14, first 2 shown]
	v_add_co_u32 v0, s0, s8, v255
	s_wait_alu 0xf1ff
	v_add_co_ci_u32_e64 v1, null, s9, 0, s0
	s_and_saveexec_b32 s0, vcc_lo
	s_cbranch_execz .LBB0_3
; %bb.2:
	ds_load_b128 v[184:187], v255 offset:4080
	ds_load_b128 v[180:183], v255 offset:8704
	;; [unrolled: 1-line block ×3, first 2 shown]
.LBB0_3:
	s_wait_alu 0xfffe
	s_or_b32 exec_lo, exec_lo, s0
	scratch_load_b32 v5, off, off           ; 4-byte Folded Reload
	s_wait_loadcnt 0x0
	v_lshlrev_b32_e32 v4, 5, v5
	s_clause 0x1
	global_load_b128 v[136:139], v4, s[10:11] offset:4352
	global_load_b128 v[140:143], v4, s[10:11] offset:4368
	s_wait_loadcnt_dscnt 0x104
	v_mul_f64_e32 v[2:3], v[150:151], v[138:139]
	s_delay_alu instid0(VALU_DEP_1) | instskip(SKIP_1) | instid1(VALU_DEP_1)
	v_fma_f64 v[6:7], v[148:149], v[136:137], -v[2:3]
	v_mul_f64_e32 v[2:3], v[148:149], v[138:139]
	v_fma_f64 v[8:9], v[150:151], v[136:137], v[2:3]
	s_wait_loadcnt 0x0
	v_mul_f64_e32 v[2:3], v[146:147], v[142:143]
	s_delay_alu instid0(VALU_DEP_1) | instskip(SKIP_1) | instid1(VALU_DEP_2)
	v_fma_f64 v[14:15], v[144:145], v[140:141], -v[2:3]
	v_mul_f64_e32 v[2:3], v[144:145], v[142:143]
	v_add_f64_e32 v[12:13], v[6:7], v[14:15]
	s_delay_alu instid0(VALU_DEP_2)
	v_fma_f64 v[10:11], v[146:147], v[140:141], v[2:3]
	v_add_nc_u32_e32 v2, 0x660, v4
	s_clause 0x1
	global_load_b128 v[144:147], v2, s[10:11] offset:4352
	global_load_b128 v[148:151], v2, s[10:11] offset:4368
	s_wait_loadcnt 0x1
	v_mul_f64_e32 v[2:3], v[158:159], v[146:147]
	s_delay_alu instid0(VALU_DEP_1) | instskip(SKIP_1) | instid1(VALU_DEP_2)
	v_fma_f64 v[26:27], v[156:157], v[144:145], -v[2:3]
	v_mul_f64_e32 v[2:3], v[156:157], v[146:147]
	v_add_f64_e32 v[32:33], v[204:205], v[26:27]
	s_delay_alu instid0(VALU_DEP_2) | instskip(SKIP_2) | instid1(VALU_DEP_2)
	v_fma_f64 v[22:23], v[158:159], v[144:145], v[2:3]
	s_wait_loadcnt 0x0
	v_mul_f64_e32 v[2:3], v[154:155], v[150:151]
	v_add_f64_e32 v[30:31], v[206:207], v[22:23]
	s_delay_alu instid0(VALU_DEP_2) | instskip(SKIP_1) | instid1(VALU_DEP_1)
	v_fma_f64 v[28:29], v[152:153], v[148:149], -v[2:3]
	v_mul_f64_e32 v[2:3], v[152:153], v[150:151]
	v_fma_f64 v[24:25], v[154:155], v[148:149], v[2:3]
	v_add_nc_u32_e32 v2, 0xcc0, v4
	s_clause 0x1
	global_load_b128 v[152:155], v2, s[10:11] offset:4352
	global_load_b128 v[156:159], v2, s[10:11] offset:4368
	v_add_f64_e64 v[42:43], v[22:23], -v[24:25]
	s_wait_loadcnt 0x1
	v_mul_f64_e32 v[2:3], v[162:163], v[154:155]
	s_delay_alu instid0(VALU_DEP_1) | instskip(SKIP_1) | instid1(VALU_DEP_2)
	v_fma_f64 v[38:39], v[160:161], v[152:153], -v[2:3]
	v_mul_f64_e32 v[2:3], v[160:161], v[154:155]
	v_add_f64_e32 v[44:45], v[200:201], v[38:39]
	s_delay_alu instid0(VALU_DEP_2) | instskip(SKIP_2) | instid1(VALU_DEP_1)
	v_fma_f64 v[34:35], v[162:163], v[152:153], v[2:3]
	s_wait_loadcnt 0x0
	v_mul_f64_e32 v[2:3], v[170:171], v[158:159]
	v_fma_f64 v[40:41], v[168:169], v[156:157], -v[2:3]
	v_mul_f64_e32 v[2:3], v[168:169], v[158:159]
	s_delay_alu instid0(VALU_DEP_1)
	v_fma_f64 v[36:37], v[170:171], v[156:157], v[2:3]
	v_add_nc_u32_e32 v2, 0x1320, v4
	s_clause 0x1
	global_load_b128 v[160:163], v2, s[10:11] offset:4352
	global_load_b128 v[168:171], v2, s[10:11] offset:4368
	v_add_f64_e64 v[54:55], v[34:35], -v[36:37]
	s_wait_loadcnt_dscnt 0x102
	v_mul_f64_e32 v[2:3], v[178:179], v[162:163]
	s_delay_alu instid0(VALU_DEP_1) | instskip(SKIP_1) | instid1(VALU_DEP_2)
	v_fma_f64 v[50:51], v[176:177], v[160:161], -v[2:3]
	v_mul_f64_e32 v[2:3], v[176:177], v[162:163]
	v_add_f64_e32 v[56:57], v[192:193], v[50:51]
	s_delay_alu instid0(VALU_DEP_2) | instskip(SKIP_2) | instid1(VALU_DEP_1)
	v_fma_f64 v[46:47], v[178:179], v[160:161], v[2:3]
	s_wait_loadcnt 0x0
	v_mul_f64_e32 v[2:3], v[174:175], v[170:171]
	v_fma_f64 v[52:53], v[172:173], v[168:169], -v[2:3]
	v_mul_f64_e32 v[2:3], v[172:173], v[170:171]
	s_delay_alu instid0(VALU_DEP_1)
	v_fma_f64 v[48:49], v[174:175], v[168:169], v[2:3]
	v_add_nc_u32_e32 v2, 0x1980, v4
	s_clause 0x1
	global_load_b128 v[172:175], v2, s[10:11] offset:4352
	global_load_b128 v[176:179], v2, s[10:11] offset:4368
	v_add_f64_e64 v[66:67], v[46:47], -v[48:49]
	s_wait_loadcnt_dscnt 0x101
	v_mul_f64_e32 v[2:3], v[166:167], v[174:175]
	s_delay_alu instid0(VALU_DEP_1) | instskip(SKIP_1) | instid1(VALU_DEP_2)
	v_fma_f64 v[62:63], v[164:165], v[172:173], -v[2:3]
	v_mul_f64_e32 v[2:3], v[164:165], v[174:175]
	v_add_f64_e32 v[68:69], v[188:189], v[62:63]
	s_delay_alu instid0(VALU_DEP_2) | instskip(SKIP_2) | instid1(VALU_DEP_1)
	v_fma_f64 v[58:59], v[166:167], v[172:173], v[2:3]
	s_wait_loadcnt_dscnt 0x0
	v_mul_f64_e32 v[2:3], v[78:79], v[178:179]
	v_fma_f64 v[64:65], v[76:77], v[176:177], -v[2:3]
	v_mul_f64_e32 v[2:3], v[76:77], v[178:179]
	s_delay_alu instid0(VALU_DEP_1)
	v_fma_f64 v[60:61], v[78:79], v[176:177], v[2:3]
	v_add_co_u32 v2, s0, 0xff, v5
	s_wait_alu 0xf1ff
	v_add_co_ci_u32_e64 v3, null, 0, 0, s0
	v_add_co_u32 v4, s0, 0xffffffde, v5
	s_wait_alu 0xf1ff
	v_add_co_ci_u32_e64 v5, null, 0, -1, s0
	s_delay_alu instid0(VALU_DEP_1) | instskip(NEXT) | instid1(VALU_DEP_1)
	v_dual_cndmask_b32 v2, v4, v2 :: v_dual_cndmask_b32 v3, v5, v3
	v_lshlrev_b64_e32 v[2:3], 5, v[2:3]
	s_delay_alu instid0(VALU_DEP_1) | instskip(SKIP_1) | instid1(VALU_DEP_2)
	v_add_co_u32 v2, s0, s10, v2
	s_wait_alu 0xf1ff
	v_add_co_ci_u32_e64 v3, s0, s11, v3, s0
	s_clause 0x1
	global_load_b128 v[16:19], v[2:3], off offset:4352
	global_load_b128 v[164:167], v[2:3], off offset:4368
	s_mov_b32 s0, 0xe8584caa
	s_mov_b32 s1, 0x3febb67a
	;; [unrolled: 1-line block ×3, first 2 shown]
	s_wait_alu 0xfffe
	s_mov_b32 s10, s0
	v_add_f64_e64 v[70:71], v[58:59], -v[60:61]
	s_wait_loadcnt 0x1
	v_mul_f64_e32 v[2:3], v[182:183], v[18:19]
	v_mul_f64_e32 v[4:5], v[180:181], v[18:19]
	scratch_store_b128 off, v[16:19], off offset:428 ; 16-byte Folded Spill
	v_add_f64_e32 v[18:19], v[208:209], v[6:7]
	v_add_f64_e64 v[6:7], v[6:7], -v[14:15]
	v_fma_f64 v[2:3], v[180:181], v[16:17], -v[2:3]
	v_fma_f64 v[4:5], v[182:183], v[16:17], v[4:5]
	v_fma_f64 v[16:17], v[12:13], -0.5, v[208:209]
	v_add_f64_e32 v[12:13], v[8:9], v[10:11]
	s_delay_alu instid0(VALU_DEP_1) | instskip(SKIP_2) | instid1(VALU_DEP_2)
	v_fma_f64 v[20:21], v[12:13], -0.5, v[210:211]
	v_add_f64_e32 v[12:13], v[210:211], v[8:9]
	v_add_f64_e64 v[8:9], v[8:9], -v[10:11]
	v_add_f64_e32 v[12:13], v[12:13], v[10:11]
	v_add_f64_e32 v[10:11], v[18:19], v[14:15]
	s_delay_alu instid0(VALU_DEP_3)
	v_fma_f64 v[14:15], v[8:9], s[0:1], v[16:17]
	s_wait_alu 0xfffe
	v_fma_f64 v[18:19], v[8:9], s[10:11], v[16:17]
	v_fma_f64 v[16:17], v[6:7], s[10:11], v[20:21]
	;; [unrolled: 1-line block ×3, first 2 shown]
	v_add_f64_e32 v[6:7], v[26:27], v[28:29]
	v_add_f64_e32 v[8:9], v[22:23], v[24:25]
	;; [unrolled: 1-line block ×3, first 2 shown]
	v_add_f64_e64 v[32:33], v[26:27], -v[28:29]
	v_add_f64_e32 v[24:25], v[30:31], v[24:25]
	v_fma_f64 v[6:7], v[6:7], -0.5, v[204:205]
	v_fma_f64 v[8:9], v[8:9], -0.5, v[206:207]
	s_delay_alu instid0(VALU_DEP_2) | instskip(SKIP_1) | instid1(VALU_DEP_3)
	v_fma_f64 v[26:27], v[42:43], s[0:1], v[6:7]
	v_fma_f64 v[30:31], v[42:43], s[10:11], v[6:7]
	v_fma_f64 v[28:29], v[32:33], s[10:11], v[8:9]
	v_fma_f64 v[32:33], v[32:33], s[0:1], v[8:9]
	v_add_f64_e32 v[6:7], v[38:39], v[40:41]
	v_add_f64_e32 v[8:9], v[34:35], v[36:37]
	v_add_f64_e32 v[42:43], v[202:203], v[34:35]
	v_add_f64_e32 v[34:35], v[44:45], v[40:41]
	v_add_f64_e64 v[44:45], v[38:39], -v[40:41]
	v_fma_f64 v[6:7], v[6:7], -0.5, v[200:201]
	v_fma_f64 v[8:9], v[8:9], -0.5, v[202:203]
	v_add_f64_e32 v[36:37], v[42:43], v[36:37]
	s_delay_alu instid0(VALU_DEP_3) | instskip(SKIP_1) | instid1(VALU_DEP_4)
	v_fma_f64 v[38:39], v[54:55], s[0:1], v[6:7]
	v_fma_f64 v[42:43], v[54:55], s[10:11], v[6:7]
	v_fma_f64 v[40:41], v[44:45], s[10:11], v[8:9]
	v_fma_f64 v[44:45], v[44:45], s[0:1], v[8:9]
	v_add_f64_e32 v[6:7], v[50:51], v[52:53]
	v_add_f64_e32 v[8:9], v[46:47], v[48:49]
	v_add_f64_e32 v[54:55], v[194:195], v[46:47]
	v_add_f64_e32 v[46:47], v[56:57], v[52:53]
	v_add_f64_e64 v[56:57], v[50:51], -v[52:53]
	v_fma_f64 v[6:7], v[6:7], -0.5, v[192:193]
	v_fma_f64 v[8:9], v[8:9], -0.5, v[194:195]
	v_add_f64_e32 v[48:49], v[54:55], v[48:49]
	s_delay_alu instid0(VALU_DEP_3) | instskip(SKIP_1) | instid1(VALU_DEP_4)
	;; [unrolled: 13-line block ×3, first 2 shown]
	v_fma_f64 v[62:63], v[70:71], s[0:1], v[6:7]
	v_fma_f64 v[66:67], v[70:71], s[10:11], v[6:7]
	v_fma_f64 v[64:65], v[68:69], s[10:11], v[8:9]
	v_fma_f64 v[68:69], v[68:69], s[0:1], v[8:9]
	s_wait_loadcnt 0x0
	v_mul_f64_e32 v[6:7], v[198:199], v[166:167]
	v_mul_f64_e32 v[8:9], v[196:197], v[166:167]
	ds_store_b128 v255, v[10:13]
	ds_store_b128 v255, v[22:25] offset:816
	ds_store_b128 v255, v[34:37] offset:1632
	;; [unrolled: 1-line block ×14, first 2 shown]
	v_fma_f64 v[6:7], v[196:197], v[164:165], -v[6:7]
	v_fma_f64 v[8:9], v[198:199], v[164:165], v[8:9]
	s_delay_alu instid0(VALU_DEP_2) | instskip(NEXT) | instid1(VALU_DEP_2)
	v_add_f64_e32 v[10:11], v[2:3], v[6:7]
	v_add_f64_e32 v[12:13], v[4:5], v[8:9]
	v_add_f64_e64 v[14:15], v[4:5], -v[8:9]
	v_add_f64_e64 v[16:17], v[2:3], -v[6:7]
	s_delay_alu instid0(VALU_DEP_4) | instskip(NEXT) | instid1(VALU_DEP_4)
	v_fma_f64 v[10:11], v[10:11], -0.5, v[184:185]
	v_fma_f64 v[12:13], v[12:13], -0.5, v[186:187]
	s_delay_alu instid0(VALU_DEP_2) | instskip(NEXT) | instid1(VALU_DEP_2)
	v_fma_f64 v[18:19], v[14:15], s[10:11], v[10:11]
	v_fma_f64 v[20:21], v[16:17], s[0:1], v[12:13]
	scratch_store_b128 off, v[18:21], off offset:4 ; 16-byte Folded Spill
	s_and_saveexec_b32 s10, vcc_lo
	s_cbranch_execz .LBB0_5
; %bb.4:
	v_add_f64_e32 v[18:19], v[186:187], v[4:5]
	v_add_f64_e32 v[2:3], v[184:185], v[2:3]
	v_mul_f64_e32 v[16:17], s[0:1], v[16:17]
	v_mul_f64_e32 v[14:15], s[0:1], v[14:15]
	s_delay_alu instid0(VALU_DEP_4) | instskip(NEXT) | instid1(VALU_DEP_4)
	v_add_f64_e32 v[8:9], v[18:19], v[8:9]
	v_add_f64_e32 v[6:7], v[2:3], v[6:7]
	s_delay_alu instid0(VALU_DEP_4) | instskip(NEXT) | instid1(VALU_DEP_4)
	v_add_f64_e64 v[4:5], v[12:13], -v[16:17]
	v_add_f64_e32 v[2:3], v[14:15], v[10:11]
	ds_store_b128 v255, v[6:9] offset:4080
	ds_store_b128 v255, v[2:5] offset:8704
	scratch_load_b128 v[2:5], off, off offset:4 ; 16-byte Folded Reload
	s_wait_loadcnt 0x0
	ds_store_b128 v255, v[2:5] offset:13328
.LBB0_5:
	s_wait_alu 0xfffe
	s_or_b32 exec_lo, exec_lo, s10
	global_wb scope:SCOPE_SE
	s_wait_storecnt_dscnt 0x0
	s_barrier_signal -1
	s_barrier_wait -1
	global_inv scope:SCOPE_SE
	global_load_b128 v[0:3], v[0:1], off offset:13872
	ds_load_b128 v[4:7], v255
	ds_load_b128 v[188:191], v255 offset:816
	s_add_nc_u64 s[0:1], s[8:9], 0x3630
	s_mov_b32 s18, 0xeb564b22
	global_load_b128 v[192:195], v255, s[0:1] offset:816
	s_mov_b32 s19, 0xbfefdd0d
	s_mov_b32 s38, 0x7c9e640b
	;; [unrolled: 1-line block ×21, first 2 shown]
	s_wait_alu 0xfffe
	s_mov_b32 s28, s18
	s_mov_b32 s14, 0x4363dd80
	;; [unrolled: 1-line block ×17, first 2 shown]
	s_wait_alu 0xfffe
	s_mov_b32 s52, s14
	s_mov_b32 s54, s46
	s_wait_loadcnt_dscnt 0x101
	v_mul_f64_e32 v[8:9], v[6:7], v[2:3]
	v_mul_f64_e32 v[2:3], v[4:5], v[2:3]
	s_delay_alu instid0(VALU_DEP_2) | instskip(NEXT) | instid1(VALU_DEP_2)
	v_fma_f64 v[184:185], v[4:5], v[0:1], -v[8:9]
	v_fma_f64 v[186:187], v[6:7], v[0:1], v[2:3]
	ds_load_b128 v[0:3], v255 offset:13056
	s_clause 0x1
	global_load_b128 v[8:11], v255, s[0:1] offset:1632
	global_load_b128 v[12:15], v255, s[0:1] offset:2448
	ds_load_b128 v[16:19], v255 offset:1632
	ds_load_b128 v[20:23], v255 offset:2448
	s_wait_loadcnt_dscnt 0x203
	v_mul_f64_e32 v[4:5], v[190:191], v[194:195]
	v_mul_f64_e32 v[6:7], v[188:189], v[194:195]
	s_delay_alu instid0(VALU_DEP_2) | instskip(NEXT) | instid1(VALU_DEP_2)
	v_fma_f64 v[4:5], v[188:189], v[192:193], -v[4:5]
	v_fma_f64 v[6:7], v[190:191], v[192:193], v[6:7]
	s_wait_loadcnt_dscnt 0x101
	v_mul_f64_e32 v[24:25], v[18:19], v[10:11]
	v_mul_f64_e32 v[10:11], v[16:17], v[10:11]
	s_delay_alu instid0(VALU_DEP_2) | instskip(NEXT) | instid1(VALU_DEP_2)
	v_fma_f64 v[16:17], v[16:17], v[8:9], -v[24:25]
	v_fma_f64 v[18:19], v[18:19], v[8:9], v[10:11]
	;; [unrolled: 6-line block ×3, first 2 shown]
	s_clause 0x1
	global_load_b128 v[12:15], v255, s[0:1] offset:3264
	global_load_b128 v[20:23], v255, s[0:1] offset:4080
	ds_load_b128 v[24:27], v255 offset:3264
	ds_load_b128 v[28:31], v255 offset:4080
	s_wait_loadcnt_dscnt 0x101
	v_mul_f64_e32 v[32:33], v[26:27], v[14:15]
	v_mul_f64_e32 v[14:15], v[24:25], v[14:15]
	s_delay_alu instid0(VALU_DEP_2) | instskip(NEXT) | instid1(VALU_DEP_2)
	v_fma_f64 v[24:25], v[24:25], v[12:13], -v[32:33]
	v_fma_f64 v[26:27], v[26:27], v[12:13], v[14:15]
	s_wait_loadcnt_dscnt 0x0
	v_mul_f64_e32 v[12:13], v[30:31], v[22:23]
	v_mul_f64_e32 v[14:15], v[28:29], v[22:23]
	s_delay_alu instid0(VALU_DEP_2) | instskip(NEXT) | instid1(VALU_DEP_2)
	v_fma_f64 v[12:13], v[28:29], v[20:21], -v[12:13]
	v_fma_f64 v[14:15], v[30:31], v[20:21], v[14:15]
	s_clause 0x1
	global_load_b128 v[20:23], v255, s[0:1] offset:4896
	global_load_b128 v[28:31], v255, s[0:1] offset:5712
	ds_load_b128 v[32:35], v255 offset:4896
	ds_load_b128 v[36:39], v255 offset:5712
	s_wait_loadcnt_dscnt 0x101
	v_mul_f64_e32 v[40:41], v[34:35], v[22:23]
	v_mul_f64_e32 v[22:23], v[32:33], v[22:23]
	s_delay_alu instid0(VALU_DEP_2) | instskip(NEXT) | instid1(VALU_DEP_2)
	v_fma_f64 v[32:33], v[32:33], v[20:21], -v[40:41]
	v_fma_f64 v[34:35], v[34:35], v[20:21], v[22:23]
	s_wait_loadcnt_dscnt 0x0
	v_mul_f64_e32 v[20:21], v[38:39], v[30:31]
	v_mul_f64_e32 v[22:23], v[36:37], v[30:31]
	s_delay_alu instid0(VALU_DEP_2) | instskip(NEXT) | instid1(VALU_DEP_2)
	v_fma_f64 v[20:21], v[36:37], v[28:29], -v[20:21]
	v_fma_f64 v[22:23], v[38:39], v[28:29], v[22:23]
	s_clause 0x1
	global_load_b128 v[28:31], v255, s[0:1] offset:6528
	global_load_b128 v[36:39], v255, s[0:1] offset:7344
	ds_load_b128 v[40:43], v255 offset:6528
	ds_load_b128 v[44:47], v255 offset:7344
	s_wait_loadcnt_dscnt 0x101
	v_mul_f64_e32 v[48:49], v[42:43], v[30:31]
	v_mul_f64_e32 v[30:31], v[40:41], v[30:31]
	s_delay_alu instid0(VALU_DEP_2) | instskip(NEXT) | instid1(VALU_DEP_2)
	v_fma_f64 v[40:41], v[40:41], v[28:29], -v[48:49]
	v_fma_f64 v[42:43], v[42:43], v[28:29], v[30:31]
	s_wait_loadcnt_dscnt 0x0
	v_mul_f64_e32 v[28:29], v[46:47], v[38:39]
	v_mul_f64_e32 v[30:31], v[44:45], v[38:39]
	s_delay_alu instid0(VALU_DEP_2) | instskip(NEXT) | instid1(VALU_DEP_2)
	v_fma_f64 v[28:29], v[44:45], v[36:37], -v[28:29]
	v_fma_f64 v[30:31], v[46:47], v[36:37], v[30:31]
	s_clause 0x1
	global_load_b128 v[36:39], v255, s[0:1] offset:8160
	global_load_b128 v[44:47], v255, s[0:1] offset:8976
	ds_load_b128 v[48:51], v255 offset:8160
	ds_load_b128 v[52:55], v255 offset:8976
	s_wait_loadcnt_dscnt 0x101
	v_mul_f64_e32 v[56:57], v[50:51], v[38:39]
	v_mul_f64_e32 v[38:39], v[48:49], v[38:39]
	s_delay_alu instid0(VALU_DEP_2) | instskip(NEXT) | instid1(VALU_DEP_2)
	v_fma_f64 v[48:49], v[48:49], v[36:37], -v[56:57]
	v_fma_f64 v[50:51], v[50:51], v[36:37], v[38:39]
	s_wait_loadcnt_dscnt 0x0
	v_mul_f64_e32 v[36:37], v[54:55], v[46:47]
	v_mul_f64_e32 v[38:39], v[52:53], v[46:47]
	s_delay_alu instid0(VALU_DEP_2) | instskip(NEXT) | instid1(VALU_DEP_2)
	v_fma_f64 v[36:37], v[52:53], v[44:45], -v[36:37]
	v_fma_f64 v[38:39], v[54:55], v[44:45], v[38:39]
	s_clause 0x1
	global_load_b128 v[44:47], v255, s[0:1] offset:9792
	global_load_b128 v[52:55], v255, s[0:1] offset:10608
	ds_load_b128 v[56:59], v255 offset:9792
	ds_load_b128 v[60:63], v255 offset:10608
	s_wait_loadcnt_dscnt 0x101
	v_mul_f64_e32 v[64:65], v[58:59], v[46:47]
	v_mul_f64_e32 v[46:47], v[56:57], v[46:47]
	s_delay_alu instid0(VALU_DEP_2) | instskip(NEXT) | instid1(VALU_DEP_2)
	v_fma_f64 v[56:57], v[56:57], v[44:45], -v[64:65]
	v_fma_f64 v[58:59], v[58:59], v[44:45], v[46:47]
	s_wait_loadcnt_dscnt 0x0
	v_mul_f64_e32 v[44:45], v[62:63], v[54:55]
	v_mul_f64_e32 v[46:47], v[60:61], v[54:55]
	s_delay_alu instid0(VALU_DEP_2) | instskip(NEXT) | instid1(VALU_DEP_2)
	v_fma_f64 v[44:45], v[60:61], v[52:53], -v[44:45]
	v_fma_f64 v[46:47], v[62:63], v[52:53], v[46:47]
	s_clause 0x1
	global_load_b128 v[52:55], v255, s[0:1] offset:11424
	global_load_b128 v[60:63], v255, s[0:1] offset:12240
	ds_load_b128 v[64:67], v255 offset:11424
	ds_load_b128 v[68:71], v255 offset:12240
	s_wait_loadcnt_dscnt 0x101
	v_mul_f64_e32 v[72:73], v[66:67], v[54:55]
	v_mul_f64_e32 v[54:55], v[64:65], v[54:55]
	s_delay_alu instid0(VALU_DEP_2) | instskip(NEXT) | instid1(VALU_DEP_2)
	v_fma_f64 v[64:65], v[64:65], v[52:53], -v[72:73]
	v_fma_f64 v[66:67], v[66:67], v[52:53], v[54:55]
	s_wait_loadcnt_dscnt 0x0
	v_mul_f64_e32 v[52:53], v[70:71], v[62:63]
	v_mul_f64_e32 v[54:55], v[68:69], v[62:63]
	s_delay_alu instid0(VALU_DEP_2) | instskip(NEXT) | instid1(VALU_DEP_2)
	v_fma_f64 v[52:53], v[68:69], v[60:61], -v[52:53]
	v_fma_f64 v[54:55], v[70:71], v[60:61], v[54:55]
	global_load_b128 v[60:63], v255, s[0:1] offset:13056
	s_mov_b32 s0, 0x923c349f
	s_mov_b32 s1, 0xbfeec746
	s_wait_alu 0xfffe
	s_mov_b32 s44, s0
	s_wait_loadcnt 0x0
	v_mul_f64_e32 v[68:69], v[2:3], v[62:63]
	v_mul_f64_e32 v[62:63], v[0:1], v[62:63]
	s_delay_alu instid0(VALU_DEP_2) | instskip(NEXT) | instid1(VALU_DEP_2)
	v_fma_f64 v[0:1], v[0:1], v[60:61], -v[68:69]
	v_fma_f64 v[2:3], v[2:3], v[60:61], v[62:63]
	ds_store_b128 v255, v[184:187]
	ds_store_b128 v255, v[4:7] offset:816
	ds_store_b128 v255, v[16:19] offset:1632
	;; [unrolled: 1-line block ×16, first 2 shown]
	global_wb scope:SCOPE_SE
	s_wait_dscnt 0x0
	s_barrier_signal -1
	s_barrier_wait -1
	global_inv scope:SCOPE_SE
	ds_load_b128 v[184:187], v255
	ds_load_b128 v[188:191], v255 offset:816
	ds_load_b128 v[192:195], v255 offset:1632
	;; [unrolled: 1-line block ×11, first 2 shown]
	s_wait_dscnt 0xa
	v_add_f64_e32 v[0:1], v[184:185], v[188:189]
	v_add_f64_e32 v[2:3], v[186:187], v[190:191]
	s_wait_dscnt 0x1
	v_add_f64_e32 v[18:19], v[214:215], v[12:13]
	v_add_f64_e64 v[22:23], v[214:215], -v[12:13]
	s_wait_dscnt 0x0
	v_add_f64_e32 v[28:29], v[210:211], v[26:27]
	v_add_f64_e64 v[30:31], v[210:211], -v[26:27]
	v_add_f64_e32 v[8:9], v[218:219], v[222:223]
	v_add_f64_e64 v[14:15], v[218:219], -v[222:223]
	v_add_f64_e32 v[0:1], v[0:1], v[192:193]
	v_add_f64_e32 v[2:3], v[2:3], v[194:195]
	s_delay_alu instid0(VALU_DEP_2) | instskip(NEXT) | instid1(VALU_DEP_2)
	v_add_f64_e32 v[0:1], v[0:1], v[196:197]
	v_add_f64_e32 v[2:3], v[2:3], v[198:199]
	s_delay_alu instid0(VALU_DEP_2) | instskip(NEXT) | instid1(VALU_DEP_2)
	;; [unrolled: 3-line block ×6, first 2 shown]
	v_add_f64_e32 v[4:5], v[0:1], v[216:217]
	v_add_f64_e32 v[6:7], v[2:3], v[218:219]
	v_add_f64_e32 v[0:1], v[216:217], v[220:221]
	v_add_f64_e64 v[2:3], v[216:217], -v[220:221]
	s_delay_alu instid0(VALU_DEP_4) | instskip(NEXT) | instid1(VALU_DEP_4)
	v_add_f64_e32 v[16:17], v[4:5], v[220:221]
	v_add_f64_e32 v[20:21], v[6:7], v[222:223]
	v_add_f64_e32 v[4:5], v[212:213], v[10:11]
	v_add_f64_e64 v[6:7], v[212:213], -v[10:11]
	s_delay_alu instid0(VALU_DEP_4) | instskip(NEXT) | instid1(VALU_DEP_4)
	;; [unrolled: 5-line block ×3, first 2 shown]
	v_add_f64_e32 v[36:37], v[16:17], v[24:25]
	v_add_f64_e32 v[40:41], v[20:21], v[26:27]
	ds_load_b128 v[24:27], v255 offset:9792
	ds_load_b128 v[32:35], v255 offset:10608
	;; [unrolled: 1-line block ×4, first 2 shown]
	s_wait_dscnt 0x3
	v_add_f64_e32 v[16:17], v[204:205], v[24:25]
	v_add_f64_e32 v[38:39], v[206:207], v[26:27]
	v_add_f64_e64 v[20:21], v[204:205], -v[24:25]
	v_add_f64_e64 v[42:43], v[206:207], -v[26:27]
	s_wait_dscnt 0x2
	v_add_f64_e32 v[44:45], v[202:203], v[34:35]
	v_add_f64_e64 v[46:47], v[202:203], -v[34:35]
	s_wait_dscnt 0x1
	v_add_f64_e32 v[220:221], v[198:199], v[50:51]
	;; [unrolled: 3-line block ×3, first 2 shown]
	v_add_f64_e64 v[227:228], v[194:195], -v[54:55]
	v_add_f64_e32 v[36:37], v[36:37], v[24:25]
	v_add_f64_e32 v[40:41], v[40:41], v[26:27]
	v_add_f64_e32 v[24:25], v[200:201], v[32:33]
	v_add_f64_e64 v[26:27], v[200:201], -v[32:33]
	s_delay_alu instid0(VALU_DEP_4) | instskip(NEXT) | instid1(VALU_DEP_4)
	v_add_f64_e32 v[36:37], v[36:37], v[32:33]
	v_add_f64_e32 v[40:41], v[40:41], v[34:35]
	v_add_f64_e32 v[32:33], v[196:197], v[48:49]
	v_add_f64_e64 v[34:35], v[196:197], -v[48:49]
	s_delay_alu instid0(VALU_DEP_4) | instskip(NEXT) | instid1(VALU_DEP_4)
	v_add_f64_e32 v[48:49], v[36:37], v[48:49]
	v_add_f64_e32 v[50:51], v[40:41], v[50:51]
	v_add_f64_e32 v[36:37], v[192:193], v[52:53]
	v_add_f64_e64 v[40:41], v[192:193], -v[52:53]
	s_delay_alu instid0(VALU_DEP_4) | instskip(NEXT) | instid1(VALU_DEP_4)
	v_add_f64_e32 v[52:53], v[48:49], v[52:53]
	v_add_f64_e32 v[54:55], v[50:51], v[54:55]
	ds_load_b128 v[48:51], v255 offset:13056
	global_wb scope:SCOPE_SE
	s_wait_dscnt 0x0
	s_barrier_signal -1
	s_barrier_wait -1
	global_inv scope:SCOPE_SE
	v_add_f64_e64 v[56:57], v[190:191], -v[50:51]
	v_add_f64_e32 v[58:59], v[188:189], v[48:49]
	v_add_f64_e32 v[60:61], v[190:191], v[50:51]
	v_add_f64_e64 v[62:63], v[188:189], -v[48:49]
	v_add_f64_e32 v[188:189], v[52:53], v[48:49]
	v_add_f64_e32 v[190:191], v[54:55], v[50:51]
	v_mul_f64_e32 v[54:55], s[18:19], v[56:57]
	v_mul_f64_e32 v[52:53], s[38:39], v[56:57]
	;; [unrolled: 1-line block ×8, first 2 shown]
	v_fma_f64 v[82:83], v[58:59], s[8:9], v[54:55]
	v_fma_f64 v[84:85], v[58:59], s[8:9], -v[54:55]
	v_mul_f64_e32 v[54:55], s[20:21], v[60:61]
	v_fma_f64 v[80:81], v[58:59], s[16:17], -v[52:53]
	v_fma_f64 v[72:73], v[58:59], s[20:21], v[50:51]
	v_fma_f64 v[88:89], v[58:59], s[12:13], -v[64:65]
	v_fma_f64 v[74:75], v[58:59], s[16:17], v[52:53]
	v_fma_f64 v[90:91], v[58:59], s[22:23], v[66:67]
	v_mul_f64_e32 v[52:53], s[24:25], v[60:61]
	v_fma_f64 v[86:87], v[58:59], s[12:13], v[64:65]
	v_mul_f64_e32 v[64:65], s[12:13], v[60:61]
	v_fma_f64 v[92:93], v[58:59], s[22:23], -v[66:67]
	v_fma_f64 v[70:71], v[58:59], s[24:25], v[48:49]
	v_fma_f64 v[94:95], v[58:59], s[26:27], v[68:69]
	v_fma_f64 v[48:49], v[58:59], s[24:25], -v[48:49]
	v_fma_f64 v[50:51], v[58:59], s[20:21], -v[50:51]
	;; [unrolled: 1-line block ×3, first 2 shown]
	v_fma_f64 v[98:99], v[58:59], s[50:51], v[56:57]
	v_fma_f64 v[100:101], v[58:59], s[50:51], -v[56:57]
	v_mul_f64_e32 v[56:57], s[16:17], v[60:61]
	v_mul_f64_e32 v[58:59], s[8:9], v[60:61]
	;; [unrolled: 1-line block ×5, first 2 shown]
	v_add_f64_e32 v[210:211], v[184:185], v[82:83]
	v_add_f64_e32 v[206:207], v[184:185], v[84:85]
	v_fma_f64 v[198:199], v[62:63], s[40:41], v[54:55]
	v_fma_f64 v[196:197], v[62:63], s[36:37], v[54:55]
	v_add_f64_e32 v[194:195], v[184:185], v[72:73]
	v_add_f64_e32 v[214:215], v[184:185], v[88:89]
	v_mul_f64_e32 v[88:89], s[10:11], v[222:223]
	v_add_f64_e32 v[231:232], v[184:185], v[90:91]
	v_fma_f64 v[192:193], v[62:63], s[42:43], v[52:53]
	v_mul_f64_e32 v[84:85], s[8:9], v[225:226]
	s_wait_alu 0xfffe
	v_fma_f64 v[212:213], v[62:63], s[44:45], v[64:65]
	v_fma_f64 v[229:230], v[62:63], s[0:1], v[64:65]
	v_add_f64_e32 v[218:219], v[184:185], v[86:87]
	v_add_f64_e32 v[202:203], v[184:185], v[74:75]
	v_add_f64_e32 v[74:75], v[184:185], v[92:93]
	v_fma_f64 v[102:103], v[62:63], s[34:35], v[52:53]
	v_add_f64_e32 v[52:53], v[184:185], v[70:71]
	v_add_f64_e32 v[70:71], v[184:185], v[94:95]
	v_add_f64_e32 v[239:240], v[184:185], v[50:51]
	v_fma_f64 v[200:201], v[62:63], s[30:31], v[56:57]
	v_fma_f64 v[56:57], v[62:63], s[38:39], v[56:57]
	;; [unrolled: 1-line block ×10, first 2 shown]
	v_add_f64_e32 v[62:63], v[184:185], v[96:97]
	v_add_f64_e32 v[50:51], v[184:185], v[100:101]
	;; [unrolled: 1-line block ×5, first 2 shown]
	v_mul_f64_e32 v[80:81], s[18:19], v[227:228]
	v_fma_f64 v[90:91], v[32:33], s[22:23], v[88:89]
	v_add_f64_e32 v[64:65], v[186:187], v[192:193]
	v_add_f64_e32 v[192:193], v[186:187], v[196:197]
	v_fma_f64 v[86:87], v[40:41], s[28:29], v[84:85]
	v_add_f64_e32 v[216:217], v[186:187], v[212:213]
	v_add_f64_e32 v[212:213], v[186:187], v[229:230]
	;; [unrolled: 3-line block ×3, first 2 shown]
	v_add_f64_e32 v[196:197], v[186:187], v[56:57]
	v_add_f64_e32 v[208:209], v[186:187], v[204:205]
	;; [unrolled: 1-line block ×10, first 2 shown]
	v_mul_f64_e32 v[233:234], s[34:35], v[14:15]
	v_mul_f64_e32 v[235:236], s[8:9], v[18:19]
	v_fma_f64 v[82:83], v[36:37], s[8:9], v[80:81]
	v_fma_f64 v[80:81], v[36:37], s[8:9], -v[80:81]
	v_add_f64_e32 v[86:87], v[86:87], v[192:193]
	v_add_f64_e32 v[84:85], v[84:85], v[237:238]
	v_mul_f64_e32 v[237:238], s[14:15], v[14:15]
	v_add_f64_e32 v[82:83], v[82:83], v[194:195]
	v_add_f64_e32 v[80:81], v[80:81], v[239:240]
	s_delay_alu instid0(VALU_DEP_2) | instskip(SKIP_1) | instid1(VALU_DEP_1)
	v_add_f64_e32 v[82:83], v[90:91], v[82:83]
	v_mul_f64_e32 v[90:91], s[22:23], v[220:221]
	v_fma_f64 v[92:93], v[34:35], s[48:49], v[90:91]
	s_delay_alu instid0(VALU_DEP_1) | instskip(SKIP_1) | instid1(VALU_DEP_1)
	v_add_f64_e32 v[86:87], v[92:93], v[86:87]
	v_mul_f64_e32 v[92:93], s[46:47], v[46:47]
	v_fma_f64 v[94:95], v[24:25], s[50:51], v[92:93]
	s_delay_alu instid0(VALU_DEP_1) | instskip(SKIP_1) | instid1(VALU_DEP_1)
	;; [unrolled: 4-line block ×9, first 2 shown]
	v_add_f64_e32 v[86:87], v[192:193], v[86:87]
	v_fma_f64 v[192:193], v[0:1], s[24:25], v[233:234]
	v_add_f64_e32 v[192:193], v[192:193], v[82:83]
	v_mul_f64_e32 v[82:83], s[24:25], v[8:9]
	s_delay_alu instid0(VALU_DEP_1) | instskip(SKIP_1) | instid1(VALU_DEP_2)
	v_fma_f64 v[194:195], v[2:3], s[42:43], v[82:83]
	v_fma_f64 v[82:83], v[2:3], s[34:35], v[82:83]
	v_add_f64_e32 v[194:195], v[194:195], v[86:87]
	v_fma_f64 v[86:87], v[32:33], s[22:23], -v[88:89]
	v_mul_f64_e32 v[88:89], s[54:55], v[222:223]
	s_delay_alu instid0(VALU_DEP_2) | instskip(SKIP_1) | instid1(VALU_DEP_3)
	v_add_f64_e32 v[80:81], v[86:87], v[80:81]
	v_fma_f64 v[86:87], v[34:35], s[10:11], v[90:91]
	v_fma_f64 v[90:91], v[32:33], s[50:51], v[88:89]
	s_delay_alu instid0(VALU_DEP_2) | instskip(SKIP_1) | instid1(VALU_DEP_1)
	v_add_f64_e32 v[84:85], v[86:87], v[84:85]
	v_fma_f64 v[86:87], v[24:25], s[50:51], -v[92:93]
	v_add_f64_e32 v[80:81], v[86:87], v[80:81]
	v_fma_f64 v[86:87], v[26:27], s[46:47], v[94:95]
	s_delay_alu instid0(VALU_DEP_1) | instskip(SKIP_1) | instid1(VALU_DEP_1)
	v_add_f64_e32 v[84:85], v[86:87], v[84:85]
	v_fma_f64 v[86:87], v[16:17], s[26:27], -v[96:97]
	v_add_f64_e32 v[80:81], v[86:87], v[80:81]
	v_fma_f64 v[86:87], v[20:21], s[52:53], v[98:99]
	s_delay_alu instid0(VALU_DEP_1) | instskip(SKIP_1) | instid1(VALU_DEP_1)
	;; [unrolled: 5-line block ×3, first 2 shown]
	v_add_f64_e32 v[84:85], v[86:87], v[84:85]
	v_fma_f64 v[86:87], v[4:5], s[16:17], -v[184:185]
	v_add_f64_e32 v[80:81], v[86:87], v[80:81]
	v_fma_f64 v[86:87], v[6:7], s[30:31], v[186:187]
	s_delay_alu instid0(VALU_DEP_1) | instskip(SKIP_2) | instid1(VALU_DEP_3)
	v_add_f64_e32 v[84:85], v[86:87], v[84:85]
	v_fma_f64 v[86:87], v[0:1], s[24:25], -v[233:234]
	v_mul_f64_e32 v[233:234], s[18:19], v[22:23]
	v_add_f64_e32 v[186:187], v[82:83], v[84:85]
	s_delay_alu instid0(VALU_DEP_3) | instskip(SKIP_2) | instid1(VALU_DEP_2)
	v_add_f64_e32 v[184:185], v[86:87], v[80:81]
	v_mul_f64_e32 v[80:81], s[10:11], v[227:228]
	v_mul_f64_e32 v[84:85], s[22:23], v[225:226]
	v_fma_f64 v[82:83], v[36:37], s[22:23], v[80:81]
	s_delay_alu instid0(VALU_DEP_2) | instskip(SKIP_2) | instid1(VALU_DEP_4)
	v_fma_f64 v[86:87], v[40:41], s[48:49], v[84:85]
	v_fma_f64 v[80:81], v[36:37], s[22:23], -v[80:81]
	v_fma_f64 v[84:85], v[40:41], s[10:11], v[84:85]
	v_add_f64_e32 v[82:83], v[82:83], v[202:203]
	s_delay_alu instid0(VALU_DEP_4) | instskip(NEXT) | instid1(VALU_DEP_4)
	v_add_f64_e32 v[86:87], v[86:87], v[200:201]
	v_add_f64_e32 v[80:81], v[80:81], v[198:199]
	s_delay_alu instid0(VALU_DEP_4) | instskip(NEXT) | instid1(VALU_DEP_4)
	v_add_f64_e32 v[84:85], v[84:85], v[196:197]
	v_add_f64_e32 v[82:83], v[90:91], v[82:83]
	v_mul_f64_e32 v[90:91], s[50:51], v[220:221]
	s_delay_alu instid0(VALU_DEP_1) | instskip(NEXT) | instid1(VALU_DEP_1)
	v_fma_f64 v[92:93], v[34:35], s[46:47], v[90:91]
	v_add_f64_e32 v[86:87], v[92:93], v[86:87]
	v_mul_f64_e32 v[92:93], s[44:45], v[46:47]
	s_delay_alu instid0(VALU_DEP_1) | instskip(NEXT) | instid1(VALU_DEP_1)
	v_fma_f64 v[94:95], v[24:25], s[12:13], v[92:93]
	;; [unrolled: 4-line block ×7, first 2 shown]
	v_add_f64_e32 v[86:87], v[200:201], v[86:87]
	v_fma_f64 v[200:201], v[4:5], s[8:9], v[233:234]
	s_delay_alu instid0(VALU_DEP_1) | instskip(SKIP_1) | instid1(VALU_DEP_1)
	v_add_f64_e32 v[82:83], v[200:201], v[82:83]
	v_fma_f64 v[200:201], v[6:7], s[28:29], v[235:236]
	v_add_f64_e32 v[86:87], v[200:201], v[86:87]
	v_fma_f64 v[200:201], v[0:1], s[26:27], v[237:238]
	s_delay_alu instid0(VALU_DEP_1) | instskip(SKIP_1) | instid1(VALU_DEP_1)
	v_add_f64_e32 v[200:201], v[200:201], v[82:83]
	v_mul_f64_e32 v[82:83], s[26:27], v[8:9]
	v_fma_f64 v[202:203], v[2:3], s[52:53], v[82:83]
	v_fma_f64 v[82:83], v[2:3], s[14:15], v[82:83]
	s_delay_alu instid0(VALU_DEP_2) | instskip(SKIP_2) | instid1(VALU_DEP_2)
	v_add_f64_e32 v[202:203], v[202:203], v[86:87]
	v_fma_f64 v[86:87], v[32:33], s[50:51], -v[88:89]
	v_mul_f64_e32 v[88:89], s[44:45], v[222:223]
	v_add_f64_e32 v[80:81], v[86:87], v[80:81]
	v_fma_f64 v[86:87], v[34:35], s[54:55], v[90:91]
	s_delay_alu instid0(VALU_DEP_3) | instskip(NEXT) | instid1(VALU_DEP_2)
	v_fma_f64 v[90:91], v[32:33], s[12:13], v[88:89]
	v_add_f64_e32 v[84:85], v[86:87], v[84:85]
	v_fma_f64 v[86:87], v[24:25], s[12:13], -v[92:93]
	s_delay_alu instid0(VALU_DEP_1) | instskip(SKIP_1) | instid1(VALU_DEP_1)
	v_add_f64_e32 v[80:81], v[86:87], v[80:81]
	v_fma_f64 v[86:87], v[26:27], s[44:45], v[94:95]
	v_add_f64_e32 v[84:85], v[86:87], v[84:85]
	v_fma_f64 v[86:87], v[16:17], s[20:21], -v[96:97]
	s_delay_alu instid0(VALU_DEP_1) | instskip(SKIP_1) | instid1(VALU_DEP_1)
	v_add_f64_e32 v[80:81], v[86:87], v[80:81]
	;; [unrolled: 5-line block ×3, first 2 shown]
	v_fma_f64 v[86:87], v[12:13], s[42:43], v[102:103]
	v_add_f64_e32 v[84:85], v[86:87], v[84:85]
	v_fma_f64 v[86:87], v[4:5], s[8:9], -v[233:234]
	v_mul_f64_e32 v[233:234], s[48:49], v[22:23]
	s_delay_alu instid0(VALU_DEP_2) | instskip(SKIP_2) | instid1(VALU_DEP_2)
	v_add_f64_e32 v[80:81], v[86:87], v[80:81]
	v_fma_f64 v[86:87], v[6:7], s[18:19], v[235:236]
	v_mul_f64_e32 v[235:236], s[22:23], v[18:19]
	v_add_f64_e32 v[84:85], v[86:87], v[84:85]
	v_fma_f64 v[86:87], v[0:1], s[26:27], -v[237:238]
	v_mul_f64_e32 v[237:238], s[36:37], v[14:15]
	s_delay_alu instid0(VALU_DEP_3) | instskip(NEXT) | instid1(VALU_DEP_3)
	v_add_f64_e32 v[198:199], v[82:83], v[84:85]
	v_add_f64_e32 v[196:197], v[86:87], v[80:81]
	v_mul_f64_e32 v[80:81], s[46:47], v[227:228]
	v_mul_f64_e32 v[84:85], s[50:51], v[225:226]
	s_delay_alu instid0(VALU_DEP_2) | instskip(NEXT) | instid1(VALU_DEP_2)
	v_fma_f64 v[82:83], v[36:37], s[50:51], v[80:81]
	v_fma_f64 v[86:87], v[40:41], s[54:55], v[84:85]
	v_fma_f64 v[80:81], v[36:37], s[50:51], -v[80:81]
	v_fma_f64 v[84:85], v[40:41], s[46:47], v[84:85]
	s_delay_alu instid0(VALU_DEP_4) | instskip(NEXT) | instid1(VALU_DEP_4)
	v_add_f64_e32 v[82:83], v[82:83], v[210:211]
	v_add_f64_e32 v[86:87], v[86:87], v[208:209]
	s_delay_alu instid0(VALU_DEP_4) | instskip(NEXT) | instid1(VALU_DEP_4)
	v_add_f64_e32 v[80:81], v[80:81], v[206:207]
	v_add_f64_e32 v[84:85], v[84:85], v[204:205]
	s_delay_alu instid0(VALU_DEP_4) | instskip(SKIP_1) | instid1(VALU_DEP_1)
	v_add_f64_e32 v[82:83], v[90:91], v[82:83]
	v_mul_f64_e32 v[90:91], s[12:13], v[220:221]
	v_fma_f64 v[92:93], v[34:35], s[0:1], v[90:91]
	s_delay_alu instid0(VALU_DEP_1) | instskip(SKIP_1) | instid1(VALU_DEP_1)
	v_add_f64_e32 v[86:87], v[92:93], v[86:87]
	v_mul_f64_e32 v[92:93], s[34:35], v[46:47]
	v_fma_f64 v[94:95], v[24:25], s[24:25], v[92:93]
	s_delay_alu instid0(VALU_DEP_1) | instskip(SKIP_1) | instid1(VALU_DEP_1)
	;; [unrolled: 4-line block ×7, first 2 shown]
	v_add_f64_e32 v[86:87], v[208:209], v[86:87]
	v_fma_f64 v[208:209], v[4:5], s[22:23], v[233:234]
	v_add_f64_e32 v[82:83], v[208:209], v[82:83]
	v_fma_f64 v[208:209], v[6:7], s[10:11], v[235:236]
	s_delay_alu instid0(VALU_DEP_1) | instskip(SKIP_1) | instid1(VALU_DEP_1)
	v_add_f64_e32 v[86:87], v[208:209], v[86:87]
	v_fma_f64 v[208:209], v[0:1], s[20:21], v[237:238]
	v_add_f64_e32 v[208:209], v[208:209], v[82:83]
	v_mul_f64_e32 v[82:83], s[20:21], v[8:9]
	s_delay_alu instid0(VALU_DEP_1) | instskip(SKIP_1) | instid1(VALU_DEP_2)
	v_fma_f64 v[210:211], v[2:3], s[40:41], v[82:83]
	v_fma_f64 v[82:83], v[2:3], s[36:37], v[82:83]
	v_add_f64_e32 v[210:211], v[210:211], v[86:87]
	v_fma_f64 v[86:87], v[32:33], s[12:13], -v[88:89]
	v_mul_f64_e32 v[88:89], s[36:37], v[222:223]
	s_delay_alu instid0(VALU_DEP_2) | instskip(SKIP_1) | instid1(VALU_DEP_3)
	v_add_f64_e32 v[80:81], v[86:87], v[80:81]
	v_fma_f64 v[86:87], v[34:35], s[44:45], v[90:91]
	v_fma_f64 v[90:91], v[32:33], s[20:21], v[88:89]
	s_delay_alu instid0(VALU_DEP_2) | instskip(SKIP_1) | instid1(VALU_DEP_1)
	v_add_f64_e32 v[84:85], v[86:87], v[84:85]
	v_fma_f64 v[86:87], v[24:25], s[24:25], -v[92:93]
	v_add_f64_e32 v[80:81], v[86:87], v[80:81]
	v_fma_f64 v[86:87], v[26:27], s[34:35], v[94:95]
	s_delay_alu instid0(VALU_DEP_1) | instskip(SKIP_1) | instid1(VALU_DEP_1)
	v_add_f64_e32 v[84:85], v[86:87], v[84:85]
	v_fma_f64 v[86:87], v[16:17], s[16:17], -v[96:97]
	v_add_f64_e32 v[80:81], v[86:87], v[80:81]
	v_fma_f64 v[86:87], v[20:21], s[38:39], v[98:99]
	s_delay_alu instid0(VALU_DEP_1) | instskip(SKIP_1) | instid1(VALU_DEP_1)
	v_add_f64_e32 v[84:85], v[86:87], v[84:85]
	v_fma_f64 v[86:87], v[10:11], s[26:27], -v[100:101]
	v_add_f64_e32 v[80:81], v[86:87], v[80:81]
	v_fma_f64 v[86:87], v[12:13], s[14:15], v[102:103]
	s_delay_alu instid0(VALU_DEP_1) | instskip(SKIP_2) | instid1(VALU_DEP_2)
	v_add_f64_e32 v[84:85], v[86:87], v[84:85]
	v_fma_f64 v[86:87], v[4:5], s[22:23], -v[233:234]
	v_mul_f64_e32 v[233:234], s[42:43], v[22:23]
	v_add_f64_e32 v[80:81], v[86:87], v[80:81]
	v_fma_f64 v[86:87], v[6:7], s[48:49], v[235:236]
	v_mul_f64_e32 v[235:236], s[24:25], v[18:19]
	s_delay_alu instid0(VALU_DEP_2) | instskip(SKIP_2) | instid1(VALU_DEP_3)
	v_add_f64_e32 v[84:85], v[86:87], v[84:85]
	v_fma_f64 v[86:87], v[0:1], s[20:21], -v[237:238]
	v_mul_f64_e32 v[237:238], s[10:11], v[14:15]
	v_add_f64_e32 v[206:207], v[82:83], v[84:85]
	s_delay_alu instid0(VALU_DEP_3) | instskip(SKIP_2) | instid1(VALU_DEP_2)
	v_add_f64_e32 v[204:205], v[86:87], v[80:81]
	v_mul_f64_e32 v[80:81], s[52:53], v[227:228]
	v_mul_f64_e32 v[84:85], s[26:27], v[225:226]
	v_fma_f64 v[82:83], v[36:37], s[26:27], v[80:81]
	s_delay_alu instid0(VALU_DEP_2) | instskip(SKIP_2) | instid1(VALU_DEP_4)
	v_fma_f64 v[86:87], v[40:41], s[14:15], v[84:85]
	v_fma_f64 v[80:81], v[36:37], s[26:27], -v[80:81]
	v_fma_f64 v[84:85], v[40:41], s[52:53], v[84:85]
	v_add_f64_e32 v[82:83], v[82:83], v[218:219]
	s_delay_alu instid0(VALU_DEP_4) | instskip(NEXT) | instid1(VALU_DEP_4)
	v_add_f64_e32 v[86:87], v[86:87], v[216:217]
	v_add_f64_e32 v[80:81], v[80:81], v[214:215]
	s_delay_alu instid0(VALU_DEP_4) | instskip(NEXT) | instid1(VALU_DEP_4)
	v_add_f64_e32 v[84:85], v[84:85], v[212:213]
	v_add_f64_e32 v[82:83], v[90:91], v[82:83]
	v_mul_f64_e32 v[90:91], s[20:21], v[220:221]
	s_delay_alu instid0(VALU_DEP_1) | instskip(NEXT) | instid1(VALU_DEP_1)
	v_fma_f64 v[92:93], v[34:35], s[40:41], v[90:91]
	v_add_f64_e32 v[86:87], v[92:93], v[86:87]
	v_mul_f64_e32 v[92:93], s[38:39], v[46:47]
	s_delay_alu instid0(VALU_DEP_1) | instskip(NEXT) | instid1(VALU_DEP_1)
	v_fma_f64 v[94:95], v[24:25], s[16:17], v[92:93]
	;; [unrolled: 4-line block ×7, first 2 shown]
	v_add_f64_e32 v[86:87], v[216:217], v[86:87]
	v_fma_f64 v[216:217], v[4:5], s[24:25], v[233:234]
	s_delay_alu instid0(VALU_DEP_1) | instskip(SKIP_1) | instid1(VALU_DEP_1)
	v_add_f64_e32 v[82:83], v[216:217], v[82:83]
	v_fma_f64 v[216:217], v[6:7], s[34:35], v[235:236]
	v_add_f64_e32 v[86:87], v[216:217], v[86:87]
	v_fma_f64 v[216:217], v[0:1], s[22:23], v[237:238]
	s_delay_alu instid0(VALU_DEP_1) | instskip(SKIP_1) | instid1(VALU_DEP_1)
	v_add_f64_e32 v[216:217], v[216:217], v[82:83]
	v_mul_f64_e32 v[82:83], s[22:23], v[8:9]
	v_fma_f64 v[218:219], v[2:3], s[48:49], v[82:83]
	v_fma_f64 v[82:83], v[2:3], s[10:11], v[82:83]
	s_delay_alu instid0(VALU_DEP_2) | instskip(SKIP_2) | instid1(VALU_DEP_2)
	v_add_f64_e32 v[218:219], v[218:219], v[86:87]
	v_fma_f64 v[86:87], v[32:33], s[20:21], -v[88:89]
	v_mul_f64_e32 v[88:89], s[42:43], v[222:223]
	v_add_f64_e32 v[80:81], v[86:87], v[80:81]
	v_fma_f64 v[86:87], v[34:35], s[36:37], v[90:91]
	s_delay_alu instid0(VALU_DEP_3) | instskip(NEXT) | instid1(VALU_DEP_2)
	v_fma_f64 v[90:91], v[32:33], s[24:25], v[88:89]
	v_add_f64_e32 v[84:85], v[86:87], v[84:85]
	v_fma_f64 v[86:87], v[24:25], s[16:17], -v[92:93]
	s_delay_alu instid0(VALU_DEP_1) | instskip(SKIP_1) | instid1(VALU_DEP_1)
	v_add_f64_e32 v[80:81], v[86:87], v[80:81]
	v_fma_f64 v[86:87], v[26:27], s[38:39], v[94:95]
	v_add_f64_e32 v[84:85], v[86:87], v[84:85]
	v_fma_f64 v[86:87], v[16:17], s[50:51], -v[96:97]
	s_delay_alu instid0(VALU_DEP_1) | instskip(SKIP_1) | instid1(VALU_DEP_1)
	v_add_f64_e32 v[80:81], v[86:87], v[80:81]
	;; [unrolled: 5-line block ×3, first 2 shown]
	v_fma_f64 v[86:87], v[12:13], s[28:29], v[102:103]
	v_add_f64_e32 v[84:85], v[86:87], v[84:85]
	v_fma_f64 v[86:87], v[4:5], s[24:25], -v[233:234]
	v_mul_f64_e32 v[233:234], s[46:47], v[22:23]
	s_delay_alu instid0(VALU_DEP_2) | instskip(SKIP_2) | instid1(VALU_DEP_2)
	v_add_f64_e32 v[80:81], v[86:87], v[80:81]
	v_fma_f64 v[86:87], v[6:7], s[42:43], v[235:236]
	v_mul_f64_e32 v[235:236], s[50:51], v[18:19]
	v_add_f64_e32 v[84:85], v[86:87], v[84:85]
	v_fma_f64 v[86:87], v[0:1], s[22:23], -v[237:238]
	v_mul_f64_e32 v[237:238], s[30:31], v[14:15]
	s_delay_alu instid0(VALU_DEP_3) | instskip(NEXT) | instid1(VALU_DEP_3)
	v_add_f64_e32 v[214:215], v[82:83], v[84:85]
	v_add_f64_e32 v[212:213], v[86:87], v[80:81]
	v_mul_f64_e32 v[80:81], s[44:45], v[227:228]
	v_mul_f64_e32 v[84:85], s[12:13], v[225:226]
	s_delay_alu instid0(VALU_DEP_2) | instskip(NEXT) | instid1(VALU_DEP_2)
	v_fma_f64 v[82:83], v[36:37], s[12:13], v[80:81]
	v_fma_f64 v[86:87], v[40:41], s[0:1], v[84:85]
	v_fma_f64 v[80:81], v[36:37], s[12:13], -v[80:81]
	s_delay_alu instid0(VALU_DEP_3) | instskip(NEXT) | instid1(VALU_DEP_3)
	v_add_f64_e32 v[82:83], v[82:83], v[231:232]
	v_add_f64_e32 v[86:87], v[86:87], v[229:230]
	s_delay_alu instid0(VALU_DEP_3) | instskip(SKIP_1) | instid1(VALU_DEP_4)
	v_add_f64_e32 v[74:75], v[80:81], v[74:75]
	v_fma_f64 v[80:81], v[40:41], s[44:45], v[84:85]
	v_add_f64_e32 v[82:83], v[90:91], v[82:83]
	v_mul_f64_e32 v[90:91], s[24:25], v[220:221]
	s_delay_alu instid0(VALU_DEP_3) | instskip(SKIP_1) | instid1(VALU_DEP_3)
	v_add_f64_e32 v[72:73], v[80:81], v[72:73]
	v_fma_f64 v[80:81], v[32:33], s[24:25], -v[88:89]
	v_fma_f64 v[92:93], v[34:35], s[34:35], v[90:91]
	s_delay_alu instid0(VALU_DEP_2) | instskip(SKIP_1) | instid1(VALU_DEP_3)
	v_add_f64_e32 v[74:75], v[80:81], v[74:75]
	v_fma_f64 v[80:81], v[34:35], s[42:43], v[90:91]
	v_add_f64_e32 v[86:87], v[92:93], v[86:87]
	v_mul_f64_e32 v[92:93], s[14:15], v[46:47]
	s_delay_alu instid0(VALU_DEP_3) | instskip(NEXT) | instid1(VALU_DEP_2)
	v_add_f64_e32 v[72:73], v[80:81], v[72:73]
	v_fma_f64 v[94:95], v[24:25], s[26:27], v[92:93]
	v_fma_f64 v[80:81], v[24:25], s[26:27], -v[92:93]
	s_delay_alu instid0(VALU_DEP_2) | instskip(SKIP_1) | instid1(VALU_DEP_3)
	v_add_f64_e32 v[82:83], v[94:95], v[82:83]
	v_mul_f64_e32 v[94:95], s[26:27], v[44:45]
	v_add_f64_e32 v[74:75], v[80:81], v[74:75]
	s_delay_alu instid0(VALU_DEP_2) | instskip(SKIP_1) | instid1(VALU_DEP_2)
	v_fma_f64 v[96:97], v[26:27], s[52:53], v[94:95]
	v_fma_f64 v[80:81], v[26:27], s[14:15], v[94:95]
	v_add_f64_e32 v[86:87], v[96:97], v[86:87]
	v_mul_f64_e32 v[96:97], s[28:29], v[42:43]
	s_delay_alu instid0(VALU_DEP_3) | instskip(NEXT) | instid1(VALU_DEP_2)
	v_add_f64_e32 v[72:73], v[80:81], v[72:73]
	v_fma_f64 v[98:99], v[16:17], s[8:9], v[96:97]
	v_fma_f64 v[80:81], v[16:17], s[8:9], -v[96:97]
	s_delay_alu instid0(VALU_DEP_2) | instskip(SKIP_1) | instid1(VALU_DEP_3)
	v_add_f64_e32 v[82:83], v[98:99], v[82:83]
	v_mul_f64_e32 v[98:99], s[8:9], v[38:39]
	v_add_f64_e32 v[74:75], v[80:81], v[74:75]
	s_delay_alu instid0(VALU_DEP_2) | instskip(SKIP_1) | instid1(VALU_DEP_2)
	v_fma_f64 v[100:101], v[20:21], s[18:19], v[98:99]
	;; [unrolled: 13-line block ×3, first 2 shown]
	v_fma_f64 v[80:81], v[12:13], s[40:41], v[102:103]
	v_add_f64_e32 v[86:87], v[229:230], v[86:87]
	v_fma_f64 v[229:230], v[4:5], s[50:51], v[233:234]
	s_delay_alu instid0(VALU_DEP_3) | instskip(SKIP_1) | instid1(VALU_DEP_3)
	v_add_f64_e32 v[72:73], v[80:81], v[72:73]
	v_fma_f64 v[80:81], v[4:5], s[50:51], -v[233:234]
	v_add_f64_e32 v[82:83], v[229:230], v[82:83]
	v_fma_f64 v[229:230], v[6:7], s[54:55], v[235:236]
	s_delay_alu instid0(VALU_DEP_3) | instskip(SKIP_2) | instid1(VALU_DEP_4)
	v_add_f64_e32 v[74:75], v[80:81], v[74:75]
	v_fma_f64 v[80:81], v[6:7], s[46:47], v[235:236]
	v_mul_f64_e32 v[235:236], s[0:1], v[14:15]
	v_add_f64_e32 v[86:87], v[229:230], v[86:87]
	v_fma_f64 v[229:230], v[0:1], s[16:17], v[237:238]
	s_delay_alu instid0(VALU_DEP_4) | instskip(SKIP_2) | instid1(VALU_DEP_4)
	v_add_f64_e32 v[80:81], v[80:81], v[72:73]
	v_fma_f64 v[72:73], v[0:1], s[16:17], -v[237:238]
	v_mul_f64_e32 v[237:238], s[12:13], v[8:9]
	v_add_f64_e32 v[229:230], v[229:230], v[82:83]
	v_mul_f64_e32 v[82:83], s[16:17], v[8:9]
	s_delay_alu instid0(VALU_DEP_4) | instskip(NEXT) | instid1(VALU_DEP_2)
	v_add_f64_e32 v[72:73], v[72:73], v[74:75]
	v_fma_f64 v[231:232], v[2:3], s[38:39], v[82:83]
	v_fma_f64 v[82:83], v[2:3], s[30:31], v[82:83]
	s_delay_alu instid0(VALU_DEP_2) | instskip(NEXT) | instid1(VALU_DEP_2)
	v_add_f64_e32 v[231:232], v[231:232], v[86:87]
	v_add_f64_e32 v[74:75], v[82:83], v[80:81]
	v_mul_f64_e32 v[80:81], s[30:31], v[227:228]
	s_delay_alu instid0(VALU_DEP_1) | instskip(SKIP_1) | instid1(VALU_DEP_2)
	v_fma_f64 v[82:83], v[36:37], s[16:17], v[80:81]
	v_fma_f64 v[80:81], v[36:37], s[16:17], -v[80:81]
	v_add_f64_e32 v[70:71], v[82:83], v[70:71]
	v_mul_f64_e32 v[82:83], s[16:17], v[225:226]
	s_delay_alu instid0(VALU_DEP_3) | instskip(NEXT) | instid1(VALU_DEP_2)
	v_add_f64_e32 v[62:63], v[80:81], v[62:63]
	v_fma_f64 v[84:85], v[40:41], s[38:39], v[82:83]
	v_fma_f64 v[80:81], v[40:41], s[30:31], v[82:83]
	;; [unrolled: 1-line block ×3, first 2 shown]
	s_delay_alu instid0(VALU_DEP_3) | instskip(SKIP_1) | instid1(VALU_DEP_4)
	v_add_f64_e32 v[68:69], v[84:85], v[68:69]
	v_mul_f64_e32 v[84:85], s[18:19], v[222:223]
	v_add_f64_e32 v[60:61], v[80:81], v[60:61]
	s_delay_alu instid0(VALU_DEP_2) | instskip(SKIP_1) | instid1(VALU_DEP_2)
	v_fma_f64 v[86:87], v[32:33], s[8:9], v[84:85]
	v_fma_f64 v[80:81], v[32:33], s[8:9], -v[84:85]
	v_add_f64_e32 v[70:71], v[86:87], v[70:71]
	v_mul_f64_e32 v[86:87], s[8:9], v[220:221]
	s_delay_alu instid0(VALU_DEP_3) | instskip(NEXT) | instid1(VALU_DEP_2)
	v_add_f64_e32 v[62:63], v[80:81], v[62:63]
	v_fma_f64 v[88:89], v[34:35], s[28:29], v[86:87]
	v_fma_f64 v[80:81], v[34:35], s[18:19], v[86:87]
	s_delay_alu instid0(VALU_DEP_2) | instskip(SKIP_1) | instid1(VALU_DEP_3)
	v_add_f64_e32 v[68:69], v[88:89], v[68:69]
	v_mul_f64_e32 v[88:89], s[48:49], v[46:47]
	v_add_f64_e32 v[60:61], v[80:81], v[60:61]
	s_delay_alu instid0(VALU_DEP_2) | instskip(SKIP_1) | instid1(VALU_DEP_2)
	v_fma_f64 v[90:91], v[24:25], s[22:23], v[88:89]
	v_fma_f64 v[80:81], v[24:25], s[22:23], -v[88:89]
	v_add_f64_e32 v[70:71], v[90:91], v[70:71]
	v_mul_f64_e32 v[90:91], s[22:23], v[44:45]
	s_delay_alu instid0(VALU_DEP_3) | instskip(NEXT) | instid1(VALU_DEP_2)
	v_add_f64_e32 v[62:63], v[80:81], v[62:63]
	v_fma_f64 v[92:93], v[26:27], s[10:11], v[90:91]
	v_fma_f64 v[80:81], v[26:27], s[48:49], v[90:91]
	s_delay_alu instid0(VALU_DEP_2) | instskip(SKIP_1) | instid1(VALU_DEP_3)
	;; [unrolled: 13-line block ×5, first 2 shown]
	v_add_f64_e32 v[80:81], v[80:81], v[60:61]
	v_fma_f64 v[60:61], v[0:1], s[12:13], -v[235:236]
	v_add_f64_e32 v[233:234], v[233:234], v[68:69]
	v_fma_f64 v[68:69], v[0:1], s[12:13], v[235:236]
	v_mul_f64_e32 v[235:236], s[28:29], v[14:15]
	v_mul_f64_e32 v[14:15], s[46:47], v[14:15]
	v_add_f64_e32 v[60:61], v[60:61], v[62:63]
	v_add_f64_e32 v[62:63], v[82:83], v[80:81]
	v_mul_f64_e32 v[80:81], s[34:35], v[227:228]
	v_add_f64_e32 v[68:69], v[68:69], v[70:71]
	v_fma_f64 v[70:71], v[2:3], s[44:45], v[237:238]
	v_mul_f64_e32 v[237:238], s[8:9], v[8:9]
	v_mul_f64_e32 v[8:9], s[50:51], v[8:9]
	v_fma_f64 v[82:83], v[36:37], s[24:25], v[80:81]
	v_fma_f64 v[80:81], v[36:37], s[24:25], -v[80:81]
	v_add_f64_e32 v[70:71], v[70:71], v[233:234]
	s_delay_alu instid0(VALU_DEP_3) | instskip(SKIP_1) | instid1(VALU_DEP_4)
	v_add_f64_e32 v[58:59], v[82:83], v[58:59]
	v_mul_f64_e32 v[82:83], s[24:25], v[225:226]
	v_add_f64_e32 v[50:51], v[80:81], v[50:51]
	s_delay_alu instid0(VALU_DEP_2) | instskip(SKIP_2) | instid1(VALU_DEP_3)
	v_fma_f64 v[84:85], v[40:41], s[42:43], v[82:83]
	v_fma_f64 v[80:81], v[40:41], s[34:35], v[82:83]
	;; [unrolled: 1-line block ×3, first 2 shown]
	v_add_f64_e32 v[56:57], v[84:85], v[56:57]
	v_mul_f64_e32 v[84:85], s[14:15], v[222:223]
	s_delay_alu instid0(VALU_DEP_4) | instskip(NEXT) | instid1(VALU_DEP_2)
	v_add_f64_e32 v[48:49], v[80:81], v[48:49]
	v_fma_f64 v[86:87], v[32:33], s[26:27], v[84:85]
	v_fma_f64 v[80:81], v[32:33], s[26:27], -v[84:85]
	s_delay_alu instid0(VALU_DEP_2) | instskip(SKIP_1) | instid1(VALU_DEP_3)
	v_add_f64_e32 v[58:59], v[86:87], v[58:59]
	v_mul_f64_e32 v[86:87], s[26:27], v[220:221]
	v_add_f64_e32 v[50:51], v[80:81], v[50:51]
	s_delay_alu instid0(VALU_DEP_2) | instskip(SKIP_1) | instid1(VALU_DEP_2)
	v_fma_f64 v[88:89], v[34:35], s[52:53], v[86:87]
	v_fma_f64 v[80:81], v[34:35], s[14:15], v[86:87]
	v_add_f64_e32 v[56:57], v[88:89], v[56:57]
	v_mul_f64_e32 v[88:89], s[36:37], v[46:47]
	s_delay_alu instid0(VALU_DEP_3) | instskip(SKIP_1) | instid1(VALU_DEP_3)
	v_add_f64_e32 v[48:49], v[80:81], v[48:49]
	v_mul_f64_e32 v[46:47], s[18:19], v[46:47]
	v_fma_f64 v[90:91], v[24:25], s[20:21], v[88:89]
	v_fma_f64 v[80:81], v[24:25], s[20:21], -v[88:89]
	s_delay_alu instid0(VALU_DEP_2) | instskip(SKIP_1) | instid1(VALU_DEP_3)
	v_add_f64_e32 v[58:59], v[90:91], v[58:59]
	v_mul_f64_e32 v[90:91], s[20:21], v[44:45]
	v_add_f64_e32 v[50:51], v[80:81], v[50:51]
	v_mul_f64_e32 v[44:45], s[8:9], v[44:45]
	s_delay_alu instid0(VALU_DEP_3) | instskip(SKIP_1) | instid1(VALU_DEP_2)
	v_fma_f64 v[92:93], v[26:27], s[40:41], v[90:91]
	v_fma_f64 v[80:81], v[26:27], s[36:37], v[90:91]
	v_add_f64_e32 v[56:57], v[92:93], v[56:57]
	v_mul_f64_e32 v[92:93], s[10:11], v[42:43]
	s_delay_alu instid0(VALU_DEP_3) | instskip(SKIP_1) | instid1(VALU_DEP_3)
	v_add_f64_e32 v[48:49], v[80:81], v[48:49]
	v_mul_f64_e32 v[42:43], s[0:1], v[42:43]
	v_fma_f64 v[94:95], v[16:17], s[22:23], v[92:93]
	v_fma_f64 v[80:81], v[16:17], s[22:23], -v[92:93]
	s_delay_alu instid0(VALU_DEP_2) | instskip(SKIP_1) | instid1(VALU_DEP_3)
	v_add_f64_e32 v[58:59], v[94:95], v[58:59]
	v_mul_f64_e32 v[94:95], s[22:23], v[38:39]
	v_add_f64_e32 v[50:51], v[80:81], v[50:51]
	v_mul_f64_e32 v[38:39], s[12:13], v[38:39]
	s_delay_alu instid0(VALU_DEP_3) | instskip(SKIP_1) | instid1(VALU_DEP_2)
	v_fma_f64 v[96:97], v[20:21], s[48:49], v[94:95]
	v_fma_f64 v[80:81], v[20:21], s[10:11], v[94:95]
	v_add_f64_e32 v[56:57], v[96:97], v[56:57]
	v_mul_f64_e32 v[96:97], s[30:31], v[30:31]
	s_delay_alu instid0(VALU_DEP_3) | instskip(NEXT) | instid1(VALU_DEP_2)
	v_add_f64_e32 v[48:49], v[80:81], v[48:49]
	v_fma_f64 v[98:99], v[10:11], s[16:17], v[96:97]
	v_fma_f64 v[80:81], v[10:11], s[16:17], -v[96:97]
	s_delay_alu instid0(VALU_DEP_2) | instskip(SKIP_1) | instid1(VALU_DEP_3)
	v_add_f64_e32 v[58:59], v[98:99], v[58:59]
	v_mul_f64_e32 v[98:99], s[16:17], v[28:29]
	v_add_f64_e32 v[50:51], v[80:81], v[50:51]
	s_delay_alu instid0(VALU_DEP_2) | instskip(SKIP_1) | instid1(VALU_DEP_2)
	v_fma_f64 v[100:101], v[12:13], s[38:39], v[98:99]
	v_fma_f64 v[80:81], v[12:13], s[30:31], v[98:99]
	v_add_f64_e32 v[56:57], v[100:101], v[56:57]
	v_mul_f64_e32 v[100:101], s[0:1], v[22:23]
	s_delay_alu instid0(VALU_DEP_3) | instskip(SKIP_1) | instid1(VALU_DEP_3)
	v_add_f64_e32 v[48:49], v[80:81], v[48:49]
	v_mul_f64_e32 v[22:23], s[14:15], v[22:23]
	v_fma_f64 v[102:103], v[4:5], s[12:13], v[100:101]
	v_fma_f64 v[80:81], v[4:5], s[12:13], -v[100:101]
	s_delay_alu instid0(VALU_DEP_2) | instskip(SKIP_1) | instid1(VALU_DEP_3)
	v_add_f64_e32 v[58:59], v[102:103], v[58:59]
	v_mul_f64_e32 v[102:103], s[12:13], v[18:19]
	v_add_f64_e32 v[50:51], v[80:81], v[50:51]
	v_mul_f64_e32 v[18:19], s[26:27], v[18:19]
	s_delay_alu instid0(VALU_DEP_3) | instskip(SKIP_1) | instid1(VALU_DEP_2)
	v_fma_f64 v[80:81], v[6:7], s[0:1], v[102:103]
	v_fma_f64 v[233:234], v[6:7], s[44:45], v[102:103]
	v_add_f64_e32 v[80:81], v[80:81], v[48:49]
	v_fma_f64 v[48:49], v[0:1], s[8:9], -v[235:236]
	s_delay_alu instid0(VALU_DEP_3) | instskip(SKIP_1) | instid1(VALU_DEP_3)
	v_add_f64_e32 v[233:234], v[233:234], v[56:57]
	v_fma_f64 v[56:57], v[0:1], s[8:9], v[235:236]
	v_add_f64_e32 v[48:49], v[48:49], v[50:51]
	v_add_f64_e32 v[50:51], v[82:83], v[80:81]
	v_mul_f64_e32 v[80:81], s[40:41], v[227:228]
	s_delay_alu instid0(VALU_DEP_4) | instskip(SKIP_1) | instid1(VALU_DEP_3)
	v_add_f64_e32 v[56:57], v[56:57], v[58:59]
	v_fma_f64 v[58:59], v[2:3], s[18:19], v[237:238]
	v_fma_f64 v[82:83], v[36:37], s[20:21], -v[80:81]
	v_fma_f64 v[36:37], v[36:37], s[20:21], v[80:81]
	s_delay_alu instid0(VALU_DEP_3) | instskip(NEXT) | instid1(VALU_DEP_3)
	v_add_f64_e32 v[58:59], v[58:59], v[233:234]
	v_add_f64_e32 v[66:67], v[82:83], v[66:67]
	v_mul_f64_e32 v[82:83], s[20:21], v[225:226]
	s_delay_alu instid0(VALU_DEP_4) | instskip(NEXT) | instid1(VALU_DEP_2)
	v_add_f64_e32 v[36:37], v[36:37], v[52:53]
	v_fma_f64 v[84:85], v[40:41], s[40:41], v[82:83]
	v_fma_f64 v[40:41], v[40:41], s[36:37], v[82:83]
	s_delay_alu instid0(VALU_DEP_2) | instskip(SKIP_1) | instid1(VALU_DEP_3)
	v_add_f64_e32 v[64:65], v[84:85], v[64:65]
	v_mul_f64_e32 v[84:85], s[38:39], v[222:223]
	v_add_f64_e32 v[40:41], v[40:41], v[54:55]
	s_delay_alu instid0(VALU_DEP_2) | instskip(SKIP_1) | instid1(VALU_DEP_2)
	v_fma_f64 v[86:87], v[32:33], s[16:17], -v[84:85]
	v_fma_f64 v[32:33], v[32:33], s[16:17], v[84:85]
	v_add_f64_e32 v[66:67], v[86:87], v[66:67]
	v_mul_f64_e32 v[86:87], s[16:17], v[220:221]
	s_delay_alu instid0(VALU_DEP_3) | instskip(NEXT) | instid1(VALU_DEP_2)
	v_add_f64_e32 v[32:33], v[32:33], v[36:37]
	v_fma_f64 v[88:89], v[34:35], s[38:39], v[86:87]
	v_fma_f64 v[34:35], v[34:35], s[30:31], v[86:87]
	s_delay_alu instid0(VALU_DEP_2) | instskip(SKIP_2) | instid1(VALU_DEP_4)
	v_add_f64_e32 v[64:65], v[88:89], v[64:65]
	v_fma_f64 v[88:89], v[24:25], s[8:9], -v[46:47]
	v_fma_f64 v[24:25], v[24:25], s[8:9], v[46:47]
	v_add_f64_e32 v[34:35], v[34:35], v[40:41]
	s_delay_alu instid0(VALU_DEP_3) | instskip(SKIP_3) | instid1(VALU_DEP_3)
	v_add_f64_e32 v[66:67], v[88:89], v[66:67]
	v_fma_f64 v[88:89], v[26:27], s[18:19], v[44:45]
	v_fma_f64 v[26:27], v[26:27], s[28:29], v[44:45]
	v_add_f64_e32 v[24:25], v[24:25], v[32:33]
	v_add_f64_e32 v[64:65], v[88:89], v[64:65]
	v_fma_f64 v[88:89], v[16:17], s[12:13], -v[42:43]
	v_fma_f64 v[16:17], v[16:17], s[12:13], v[42:43]
	v_add_f64_e32 v[26:27], v[26:27], v[34:35]
	s_delay_alu instid0(VALU_DEP_3) | instskip(SKIP_3) | instid1(VALU_DEP_3)
	v_add_f64_e32 v[66:67], v[88:89], v[66:67]
	v_fma_f64 v[88:89], v[20:21], s[0:1], v[38:39]
	v_fma_f64 v[20:21], v[20:21], s[44:45], v[38:39]
	v_add_f64_e32 v[16:17], v[16:17], v[24:25]
	v_add_f64_e32 v[64:65], v[88:89], v[64:65]
	v_mul_f64_e32 v[88:89], s[10:11], v[30:31]
	s_delay_alu instid0(VALU_DEP_4) | instskip(NEXT) | instid1(VALU_DEP_2)
	v_add_f64_e32 v[20:21], v[20:21], v[26:27]
	v_fma_f64 v[30:31], v[10:11], s[22:23], -v[88:89]
	v_fma_f64 v[10:11], v[10:11], s[22:23], v[88:89]
	s_delay_alu instid0(VALU_DEP_2) | instskip(SKIP_1) | instid1(VALU_DEP_3)
	v_add_f64_e32 v[30:31], v[30:31], v[66:67]
	v_mul_f64_e32 v[66:67], s[22:23], v[28:29]
	v_add_f64_e32 v[10:11], v[10:11], v[16:17]
	s_delay_alu instid0(VALU_DEP_2) | instskip(SKIP_1) | instid1(VALU_DEP_2)
	v_fma_f64 v[28:29], v[12:13], s[10:11], v[66:67]
	v_fma_f64 v[12:13], v[12:13], s[48:49], v[66:67]
	v_add_f64_e32 v[28:29], v[28:29], v[64:65]
	v_fma_f64 v[64:65], v[4:5], s[26:27], -v[22:23]
	v_fma_f64 v[4:5], v[4:5], s[26:27], v[22:23]
	s_delay_alu instid0(VALU_DEP_4) | instskip(NEXT) | instid1(VALU_DEP_3)
	v_add_f64_e32 v[12:13], v[12:13], v[20:21]
	v_add_f64_e32 v[30:31], v[64:65], v[30:31]
	v_fma_f64 v[64:65], v[6:7], s[14:15], v[18:19]
	v_fma_f64 v[6:7], v[6:7], s[52:53], v[18:19]
	v_add_f64_e32 v[4:5], v[4:5], v[10:11]
	s_delay_alu instid0(VALU_DEP_3) | instskip(SKIP_3) | instid1(VALU_DEP_3)
	v_add_f64_e32 v[64:65], v[64:65], v[28:29]
	v_fma_f64 v[28:29], v[0:1], s[50:51], -v[14:15]
	v_fma_f64 v[0:1], v[0:1], s[50:51], v[14:15]
	v_add_f64_e32 v[6:7], v[6:7], v[12:13]
	v_add_f64_e32 v[28:29], v[28:29], v[30:31]
	v_fma_f64 v[30:31], v[2:3], s[46:47], v[8:9]
	v_fma_f64 v[2:3], v[2:3], s[54:55], v[8:9]
	v_add_f64_e32 v[0:1], v[0:1], v[4:5]
	s_delay_alu instid0(VALU_DEP_3) | instskip(NEXT) | instid1(VALU_DEP_3)
	v_add_f64_e32 v[30:31], v[30:31], v[64:65]
	v_add_f64_e32 v[2:3], v[2:3], v[6:7]
	ds_store_b128 v224, v[192:195] offset:32
	ds_store_b128 v224, v[200:203] offset:48
	;; [unrolled: 1-line block ×16, first 2 shown]
	ds_store_b128 v224, v[188:191]
	global_wb scope:SCOPE_SE
	s_wait_dscnt 0x0
	s_barrier_signal -1
	s_barrier_wait -1
	global_inv scope:SCOPE_SE
	ds_load_b128 v[184:187], v255 offset:816
	ds_load_b128 v[8:11], v255
	scratch_load_b128 v[2:5], off, off offset:316 th:TH_LOAD_LU ; 16-byte Folded Reload
	s_wait_loadcnt_dscnt 0x1
	v_mul_f64_e32 v[0:1], v[4:5], v[186:187]
	s_delay_alu instid0(VALU_DEP_1) | instskip(SKIP_1) | instid1(VALU_DEP_1)
	v_fma_f64 v[12:13], v[2:3], v[184:185], v[0:1]
	v_mul_f64_e32 v[0:1], v[4:5], v[184:185]
	v_fma_f64 v[14:15], v[2:3], v[186:187], -v[0:1]
	ds_load_b128 v[0:3], v255 offset:1632
	ds_load_b128 v[4:7], v255 offset:2448
	scratch_load_b128 v[18:21], off, off offset:300 th:TH_LOAD_LU ; 16-byte Folded Reload
	s_wait_loadcnt_dscnt 0x1
	v_mul_f64_e32 v[16:17], v[20:21], v[2:3]
	s_delay_alu instid0(VALU_DEP_1) | instskip(SKIP_1) | instid1(VALU_DEP_1)
	v_fma_f64 v[184:185], v[18:19], v[0:1], v[16:17]
	v_mul_f64_e32 v[0:1], v[20:21], v[0:1]
	v_fma_f64 v[186:187], v[18:19], v[2:3], -v[0:1]
	scratch_load_b128 v[16:19], off, off offset:380 th:TH_LOAD_LU ; 16-byte Folded Reload
	s_wait_loadcnt_dscnt 0x0
	v_mul_f64_e32 v[0:1], v[18:19], v[6:7]
	s_delay_alu instid0(VALU_DEP_1) | instskip(SKIP_1) | instid1(VALU_DEP_1)
	v_fma_f64 v[188:189], v[16:17], v[4:5], v[0:1]
	v_mul_f64_e32 v[0:1], v[18:19], v[4:5]
	v_fma_f64 v[190:191], v[16:17], v[6:7], -v[0:1]
	ds_load_b128 v[0:3], v255 offset:3264
	ds_load_b128 v[4:7], v255 offset:4080
	scratch_load_b128 v[18:21], off, off offset:332 th:TH_LOAD_LU ; 16-byte Folded Reload
	s_wait_loadcnt_dscnt 0x1
	v_mul_f64_e32 v[16:17], v[20:21], v[2:3]
	s_delay_alu instid0(VALU_DEP_1) | instskip(SKIP_1) | instid1(VALU_DEP_1)
	v_fma_f64 v[192:193], v[18:19], v[0:1], v[16:17]
	v_mul_f64_e32 v[0:1], v[20:21], v[0:1]
	v_fma_f64 v[194:195], v[18:19], v[2:3], -v[0:1]
	;; [unrolled: 16-line block ×3, first 2 shown]
	s_wait_dscnt 0x0
	v_mul_f64_e32 v[0:1], v[110:111], v[6:7]
	s_delay_alu instid0(VALU_DEP_1) | instskip(SKIP_1) | instid1(VALU_DEP_1)
	v_fma_f64 v[204:205], v[108:109], v[4:5], v[0:1]
	v_mul_f64_e32 v[0:1], v[110:111], v[4:5]
	v_fma_f64 v[206:207], v[108:109], v[6:7], -v[0:1]
	ds_load_b128 v[0:3], v255 offset:6528
	ds_load_b128 v[4:7], v255 offset:7344
	scratch_load_b128 v[18:21], off, off offset:364 th:TH_LOAD_LU ; 16-byte Folded Reload
	s_wait_loadcnt_dscnt 0x1
	v_mul_f64_e32 v[16:17], v[20:21], v[2:3]
	s_delay_alu instid0(VALU_DEP_1) | instskip(SKIP_1) | instid1(VALU_DEP_1)
	v_fma_f64 v[208:209], v[18:19], v[0:1], v[16:17]
	v_mul_f64_e32 v[0:1], v[20:21], v[0:1]
	v_fma_f64 v[210:211], v[18:19], v[2:3], -v[0:1]
	s_wait_dscnt 0x0
	v_mul_f64_e32 v[0:1], v[118:119], v[6:7]
	s_delay_alu instid0(VALU_DEP_1) | instskip(SKIP_1) | instid1(VALU_DEP_1)
	v_fma_f64 v[212:213], v[116:117], v[4:5], v[0:1]
	v_mul_f64_e32 v[0:1], v[118:119], v[4:5]
	v_fma_f64 v[116:117], v[116:117], v[6:7], -v[0:1]
	ds_load_b128 v[0:3], v255 offset:8160
	ds_load_b128 v[4:7], v255 offset:8976
	scratch_load_b128 v[18:21], off, off offset:396 th:TH_LOAD_LU ; 16-byte Folded Reload
	s_wait_loadcnt_dscnt 0x1
	v_mul_f64_e32 v[16:17], v[20:21], v[2:3]
	s_delay_alu instid0(VALU_DEP_1) | instskip(SKIP_1) | instid1(VALU_DEP_1)
	v_fma_f64 v[118:119], v[18:19], v[0:1], v[16:17]
	v_mul_f64_e32 v[0:1], v[20:21], v[0:1]
	v_fma_f64 v[214:215], v[18:19], v[2:3], -v[0:1]
	s_wait_dscnt 0x0
	v_mul_f64_e32 v[0:1], v[122:123], v[6:7]
	s_delay_alu instid0(VALU_DEP_1) | instskip(SKIP_1) | instid1(VALU_DEP_1)
	v_fma_f64 v[216:217], v[120:121], v[4:5], v[0:1]
	v_mul_f64_e32 v[0:1], v[122:123], v[4:5]
	v_fma_f64 v[120:121], v[120:121], v[6:7], -v[0:1]
	ds_load_b128 v[0:3], v255 offset:9792
	ds_load_b128 v[4:7], v255 offset:10608
	s_wait_dscnt 0x1
	v_mul_f64_e32 v[16:17], v[106:107], v[2:3]
	s_delay_alu instid0(VALU_DEP_1) | instskip(SKIP_1) | instid1(VALU_DEP_1)
	v_fma_f64 v[122:123], v[104:105], v[0:1], v[16:17]
	v_mul_f64_e32 v[0:1], v[106:107], v[0:1]
	v_fma_f64 v[218:219], v[104:105], v[2:3], -v[0:1]
	s_wait_dscnt 0x0
	v_mul_f64_e32 v[0:1], v[130:131], v[6:7]
	s_delay_alu instid0(VALU_DEP_1) | instskip(SKIP_1) | instid1(VALU_DEP_1)
	v_fma_f64 v[220:221], v[128:129], v[4:5], v[0:1]
	v_mul_f64_e32 v[0:1], v[130:131], v[4:5]
	v_fma_f64 v[128:129], v[128:129], v[6:7], -v[0:1]
	ds_load_b128 v[0:3], v255 offset:11424
	ds_load_b128 v[4:7], v255 offset:12240
	s_wait_dscnt 0x1
	v_mul_f64_e32 v[16:17], v[114:115], v[2:3]
	s_delay_alu instid0(VALU_DEP_1) | instskip(SKIP_1) | instid1(VALU_DEP_2)
	v_fma_f64 v[130:131], v[112:113], v[0:1], v[16:17]
	v_mul_f64_e32 v[0:1], v[114:115], v[0:1]
	v_add_f64_e32 v[237:238], v[188:189], v[130:131]
	s_delay_alu instid0(VALU_DEP_2) | instskip(SKIP_3) | instid1(VALU_DEP_3)
	v_fma_f64 v[112:113], v[112:113], v[2:3], -v[0:1]
	s_wait_dscnt 0x0
	v_mul_f64_e32 v[0:1], v[134:135], v[6:7]
	v_add_f64_e64 v[239:240], v[188:189], -v[130:131]
	v_add_f64_e64 v[253:254], v[190:191], -v[112:113]
	s_delay_alu instid0(VALU_DEP_3) | instskip(SKIP_1) | instid1(VALU_DEP_2)
	v_fma_f64 v[114:115], v[132:133], v[4:5], v[0:1]
	v_mul_f64_e32 v[0:1], v[134:135], v[4:5]
	v_add_f64_e32 v[229:230], v[184:185], v[114:115]
	s_delay_alu instid0(VALU_DEP_2)
	v_fma_f64 v[132:133], v[132:133], v[6:7], -v[0:1]
	ds_load_b128 v[0:3], v255 offset:13056
	v_add_f64_e64 v[231:232], v[184:185], -v[114:115]
	s_wait_dscnt 0x0
	v_mul_f64_e32 v[4:5], v[126:127], v[0:1]
	v_add_f64_e64 v[245:246], v[186:187], -v[132:133]
	v_add_f64_e32 v[247:248], v[186:187], v[132:133]
	s_delay_alu instid0(VALU_DEP_3) | instskip(SKIP_1) | instid1(VALU_DEP_1)
	v_fma_f64 v[134:135], v[124:125], v[2:3], -v[4:5]
	v_mul_f64_e32 v[2:3], v[126:127], v[2:3]
	v_fma_f64 v[124:125], v[124:125], v[0:1], v[2:3]
	s_delay_alu instid0(VALU_DEP_3) | instskip(NEXT) | instid1(VALU_DEP_2)
	v_add_f64_e64 v[0:1], v[14:15], -v[134:135]
	v_add_f64_e32 v[24:25], v[12:13], v[124:125]
	s_delay_alu instid0(VALU_DEP_2)
	v_mul_f64_e32 v[16:17], s[18:19], v[0:1]
	v_mul_f64_e32 v[2:3], s[42:43], v[0:1]
	;; [unrolled: 1-line block ×8, first 2 shown]
	v_add_f64_e64 v[56:57], v[12:13], -v[124:125]
	v_add_f64_e32 v[12:13], v[8:9], v[12:13]
	v_fma_f64 v[38:39], v[24:25], s[8:9], v[16:17]
	v_fma_f64 v[40:41], v[24:25], s[8:9], -v[16:17]
	v_add_f64_e32 v[16:17], v[14:15], v[134:135]
	v_fma_f64 v[26:27], v[24:25], s[24:25], v[2:3]
	v_fma_f64 v[2:3], v[24:25], s[24:25], -v[2:3]
	v_fma_f64 v[28:29], v[24:25], s[20:21], v[4:5]
	v_fma_f64 v[4:5], v[24:25], s[20:21], -v[4:5]
	;; [unrolled: 2-line block ×7, first 2 shown]
	v_add_f64_e32 v[102:103], v[8:9], v[38:39]
	v_add_f64_e32 v[98:99], v[8:9], v[40:41]
	v_mul_f64_e32 v[24:25], s[24:25], v[16:17]
	v_mul_f64_e32 v[30:31], s[20:21], v[16:17]
	;; [unrolled: 1-line block ×8, first 2 shown]
	v_add_f64_e32 v[106:107], v[8:9], v[42:43]
	v_mul_f64_e32 v[42:43], s[40:41], v[245:246]
	v_add_f64_e32 v[94:95], v[8:9], v[4:5]
	v_add_f64_e32 v[88:89], v[8:9], v[36:37]
	;; [unrolled: 1-line block ×5, first 2 shown]
	scratch_store_b64 off, v[12:13], off offset:300 ; 8-byte Folded Spill
	v_add_f64_e32 v[12:13], v[10:11], v[14:15]
	v_add_f64_e32 v[243:244], v[8:9], v[22:23]
	;; [unrolled: 1-line block ×7, first 2 shown]
	v_add_f64_e64 v[40:41], v[196:197], -v[122:123]
	v_fma_f64 v[58:59], v[56:57], s[34:35], v[24:25]
	v_fma_f64 v[24:25], v[56:57], s[42:43], v[24:25]
	v_fma_f64 v[60:61], v[56:57], s[36:37], v[30:31]
	v_fma_f64 v[62:63], v[56:57], s[40:41], v[30:31]
	v_fma_f64 v[64:65], v[56:57], s[30:31], v[32:33]
	v_fma_f64 v[66:67], v[56:57], s[38:39], v[32:33]
	v_fma_f64 v[68:69], v[56:57], s[28:29], v[34:35]
	v_fma_f64 v[70:71], v[56:57], s[18:19], v[34:35]
	v_fma_f64 v[74:75], v[56:57], s[44:45], v[50:51]
	v_fma_f64 v[50:51], v[56:57], s[0:1], v[50:51]
	v_fma_f64 v[80:81], v[56:57], s[48:49], v[52:53]
	v_fma_f64 v[52:53], v[56:57], s[10:11], v[52:53]
	v_fma_f64 v[82:83], v[56:57], s[52:53], v[54:55]
	v_fma_f64 v[54:55], v[56:57], s[14:15], v[54:55]
	scratch_store_b64 off, v[0:1], off offset:332 ; 8-byte Folded Spill
	v_fma_f64 v[84:85], v[56:57], s[54:55], v[16:17]
	v_fma_f64 v[56:57], v[56:57], s[46:47], v[16:17]
	v_add_f64_e32 v[16:17], v[8:9], v[6:7]
	v_add_f64_e32 v[6:7], v[8:9], v[44:45]
	v_mul_f64_e32 v[44:45], s[20:21], v[247:248]
	scratch_store_b64 off, v[12:13], off offset:316 ; 8-byte Folded Spill
	v_add_f64_e32 v[12:13], v[8:9], v[26:27]
	v_add_f64_e32 v[34:35], v[8:9], v[2:3]
	;; [unrolled: 1-line block ×4, first 2 shown]
	v_fma_f64 v[0:1], v[229:230], s[20:21], v[42:43]
	v_add_f64_e64 v[26:27], v[192:193], -v[220:221]
	v_add_f64_e64 v[46:47], v[198:199], -v[218:219]
	v_fma_f64 v[42:43], v[229:230], s[20:21], -v[42:43]
	v_add_f64_e32 v[14:15], v[10:11], v[58:59]
	v_add_f64_e32 v[32:33], v[10:11], v[24:25]
	v_add_f64_e32 v[28:29], v[10:11], v[60:61]
	v_add_f64_e32 v[72:73], v[10:11], v[62:63]
	v_add_f64_e32 v[92:93], v[10:11], v[64:65]
	v_add_f64_e32 v[90:91], v[10:11], v[66:67]
	v_add_f64_e32 v[100:101], v[10:11], v[68:69]
	v_add_f64_e32 v[96:97], v[10:11], v[70:71]
	v_add_f64_e32 v[104:105], v[10:11], v[74:75]
	v_add_f64_e32 v[108:109], v[10:11], v[50:51]
	v_add_f64_e32 v[4:5], v[10:11], v[80:81]
	v_add_f64_e32 v[249:250], v[10:11], v[52:53]
	v_add_f64_e32 v[126:127], v[10:11], v[82:83]
	v_add_f64_e32 v[222:223], v[10:11], v[54:55]
	v_mul_f64_e32 v[54:55], s[38:39], v[253:254]
	v_add_f64_e32 v[233:234], v[10:11], v[84:85]
	v_add_f64_e32 v[227:228], v[10:11], v[56:57]
	v_mul_f64_e32 v[68:69], s[8:9], v[36:37]
	v_mul_f64_e32 v[74:75], s[12:13], v[48:49]
	v_fma_f64 v[8:9], v[231:232], s[36:37], v[44:45]
	v_add_f64_e64 v[58:59], v[202:203], -v[120:121]
	v_add_f64_e32 v[50:51], v[200:201], v[216:217]
	v_add_f64_e32 v[60:61], v[202:203], v[120:121]
	v_add_f64_e64 v[52:53], v[200:201], -v[216:217]
	v_add_f64_e32 v[62:63], v[204:205], v[118:119]
	v_add_f64_e32 v[0:1], v[0:1], v[12:13]
	v_add_f64_e64 v[64:65], v[204:205], -v[118:119]
	v_mul_f64_e32 v[70:71], s[0:1], v[46:47]
	v_add_f64_e32 v[34:35], v[42:43], v[34:35]
	v_fma_f64 v[42:43], v[231:232], s[40:41], v[44:45]
	v_add_f64_e32 v[10:11], v[8:9], v[14:15]
	v_fma_f64 v[8:9], v[237:238], s[16:17], v[54:55]
	v_mul_f64_e32 v[84:85], s[10:11], v[58:59]
	v_mul_f64_e32 v[86:87], s[22:23], v[60:61]
	v_add_f64_e32 v[32:33], v[42:43], v[32:33]
	v_fma_f64 v[42:43], v[237:238], s[16:17], -v[54:55]
	v_add_f64_e32 v[12:13], v[8:9], v[0:1]
	v_add_f64_e32 v[8:9], v[190:191], v[112:113]
	s_delay_alu instid0(VALU_DEP_3) | instskip(NEXT) | instid1(VALU_DEP_2)
	v_add_f64_e32 v[34:35], v[42:43], v[34:35]
	v_mul_f64_e32 v[56:57], s[16:17], v[8:9]
	s_delay_alu instid0(VALU_DEP_1) | instskip(SKIP_1) | instid1(VALU_DEP_2)
	v_fma_f64 v[0:1], v[239:240], s[30:31], v[56:57]
	v_fma_f64 v[42:43], v[239:240], s[38:39], v[56:57]
	v_add_f64_e32 v[10:11], v[0:1], v[10:11]
	v_add_f64_e64 v[0:1], v[194:195], -v[128:129]
	s_delay_alu instid0(VALU_DEP_3) | instskip(NEXT) | instid1(VALU_DEP_2)
	v_add_f64_e32 v[32:33], v[42:43], v[32:33]
	v_mul_f64_e32 v[66:67], s[18:19], v[0:1]
	s_delay_alu instid0(VALU_DEP_1) | instskip(SKIP_1) | instid1(VALU_DEP_2)
	v_fma_f64 v[14:15], v[20:21], s[8:9], v[66:67]
	v_fma_f64 v[42:43], v[20:21], s[8:9], -v[66:67]
	v_add_f64_e32 v[12:13], v[14:15], v[12:13]
	v_fma_f64 v[14:15], v[26:27], s[28:29], v[68:69]
	s_delay_alu instid0(VALU_DEP_3) | instskip(SKIP_1) | instid1(VALU_DEP_3)
	v_add_f64_e32 v[34:35], v[42:43], v[34:35]
	v_fma_f64 v[42:43], v[26:27], s[18:19], v[68:69]
	v_add_f64_e32 v[10:11], v[14:15], v[10:11]
	v_fma_f64 v[14:15], v[38:39], s[12:13], v[70:71]
	s_delay_alu instid0(VALU_DEP_3) | instskip(SKIP_1) | instid1(VALU_DEP_3)
	v_add_f64_e32 v[32:33], v[42:43], v[32:33]
	v_fma_f64 v[42:43], v[38:39], s[12:13], -v[70:71]
	v_add_f64_e32 v[12:13], v[14:15], v[12:13]
	v_fma_f64 v[14:15], v[40:41], s[44:45], v[74:75]
	s_delay_alu instid0(VALU_DEP_3) | instskip(SKIP_1) | instid1(VALU_DEP_3)
	v_add_f64_e32 v[34:35], v[42:43], v[34:35]
	v_fma_f64 v[42:43], v[40:41], s[0:1], v[74:75]
	v_add_f64_e32 v[10:11], v[14:15], v[10:11]
	v_fma_f64 v[14:15], v[50:51], s[22:23], v[84:85]
	s_delay_alu instid0(VALU_DEP_3) | instskip(SKIP_1) | instid1(VALU_DEP_3)
	v_add_f64_e32 v[32:33], v[42:43], v[32:33]
	v_fma_f64 v[42:43], v[50:51], s[22:23], -v[84:85]
	v_add_f64_e32 v[12:13], v[14:15], v[12:13]
	v_fma_f64 v[14:15], v[52:53], s[48:49], v[86:87]
	s_delay_alu instid0(VALU_DEP_3) | instskip(SKIP_1) | instid1(VALU_DEP_3)
	v_add_f64_e32 v[34:35], v[42:43], v[34:35]
	v_fma_f64 v[42:43], v[52:53], s[10:11], v[86:87]
	v_add_f64_e32 v[14:15], v[14:15], v[10:11]
	v_add_f64_e64 v[10:11], v[206:207], -v[214:215]
	s_delay_alu instid0(VALU_DEP_3) | instskip(NEXT) | instid1(VALU_DEP_2)
	v_add_f64_e32 v[32:33], v[42:43], v[32:33]
	v_mul_f64_e32 v[180:181], s[14:15], v[10:11]
	s_delay_alu instid0(VALU_DEP_1) | instskip(SKIP_2) | instid1(VALU_DEP_3)
	v_fma_f64 v[18:19], v[62:63], s[26:27], v[180:181]
	v_fma_f64 v[42:43], v[62:63], s[26:27], -v[180:181]
	v_mul_f64_e32 v[180:181], s[30:31], v[10:11]
	v_add_f64_e32 v[18:19], v[18:19], v[12:13]
	v_add_f64_e32 v[12:13], v[206:207], v[214:215]
	s_delay_alu instid0(VALU_DEP_4) | instskip(NEXT) | instid1(VALU_DEP_2)
	v_add_f64_e32 v[34:35], v[42:43], v[34:35]
	v_mul_f64_e32 v[182:183], s[26:27], v[12:13]
	s_delay_alu instid0(VALU_DEP_1) | instskip(SKIP_2) | instid1(VALU_DEP_3)
	v_fma_f64 v[22:23], v[64:65], s[52:53], v[182:183]
	v_fma_f64 v[42:43], v[64:65], s[14:15], v[182:183]
	v_mul_f64_e32 v[182:183], s[16:17], v[12:13]
	v_add_f64_e32 v[82:83], v[22:23], v[14:15]
	v_add_f64_e64 v[22:23], v[210:211], -v[116:117]
	v_add_f64_e32 v[14:15], v[208:209], v[212:213]
	v_add_f64_e32 v[32:33], v[42:43], v[32:33]
	s_delay_alu instid0(VALU_DEP_3) | instskip(NEXT) | instid1(VALU_DEP_1)
	v_mul_f64_e32 v[76:77], s[46:47], v[22:23]
	v_fma_f64 v[24:25], v[14:15], s[50:51], v[76:77]
	v_fma_f64 v[42:43], v[14:15], s[50:51], -v[76:77]
	s_delay_alu instid0(VALU_DEP_2) | instskip(SKIP_2) | instid1(VALU_DEP_4)
	v_add_f64_e32 v[80:81], v[24:25], v[18:19]
	v_add_f64_e32 v[24:25], v[210:211], v[116:117]
	v_add_f64_e64 v[18:19], v[208:209], -v[212:213]
	v_add_f64_e32 v[68:69], v[42:43], v[34:35]
	s_delay_alu instid0(VALU_DEP_3) | instskip(NEXT) | instid1(VALU_DEP_1)
	v_mul_f64_e32 v[78:79], s[50:51], v[24:25]
	v_fma_f64 v[44:45], v[18:19], s[46:47], v[78:79]
	v_fma_f64 v[224:225], v[18:19], s[54:55], v[78:79]
	s_delay_alu instid0(VALU_DEP_2) | instskip(SKIP_1) | instid1(VALU_DEP_3)
	v_add_f64_e32 v[70:71], v[44:45], v[32:33]
	v_mul_f64_e32 v[32:33], s[18:19], v[245:246]
	v_add_f64_e32 v[82:83], v[224:225], v[82:83]
	v_mul_f64_e32 v[224:225], s[34:35], v[22:23]
	s_delay_alu instid0(VALU_DEP_3) | instskip(NEXT) | instid1(VALU_DEP_1)
	v_fma_f64 v[34:35], v[229:230], s[8:9], v[32:33]
	v_add_f64_e32 v[30:31], v[34:35], v[30:31]
	v_mul_f64_e32 v[34:35], s[8:9], v[247:248]
	s_delay_alu instid0(VALU_DEP_1) | instskip(NEXT) | instid1(VALU_DEP_1)
	v_fma_f64 v[42:43], v[231:232], s[28:29], v[34:35]
	v_add_f64_e32 v[28:29], v[42:43], v[28:29]
	v_mul_f64_e32 v[42:43], s[10:11], v[253:254]
	s_delay_alu instid0(VALU_DEP_1) | instskip(NEXT) | instid1(VALU_DEP_1)
	;; [unrolled: 4-line block ×9, first 2 shown]
	v_fma_f64 v[84:85], v[52:53], s[0:1], v[78:79]
	v_add_f64_e32 v[28:29], v[84:85], v[28:29]
	v_fma_f64 v[84:85], v[62:63], s[16:17], v[180:181]
	s_delay_alu instid0(VALU_DEP_1) | instskip(SKIP_1) | instid1(VALU_DEP_1)
	v_add_f64_e32 v[30:31], v[84:85], v[30:31]
	v_fma_f64 v[84:85], v[64:65], s[38:39], v[182:183]
	v_add_f64_e32 v[28:29], v[84:85], v[28:29]
	v_fma_f64 v[84:85], v[14:15], s[24:25], v[224:225]
	s_delay_alu instid0(VALU_DEP_1) | instskip(SKIP_1) | instid1(VALU_DEP_1)
	v_add_f64_e32 v[84:85], v[84:85], v[30:31]
	v_mul_f64_e32 v[30:31], s[24:25], v[24:25]
	v_fma_f64 v[86:87], v[18:19], s[42:43], v[30:31]
	v_fma_f64 v[30:31], v[18:19], s[34:35], v[30:31]
	s_delay_alu instid0(VALU_DEP_2) | instskip(SKIP_4) | instid1(VALU_DEP_4)
	v_add_f64_e32 v[86:87], v[86:87], v[28:29]
	v_fma_f64 v[28:29], v[229:230], s[8:9], -v[32:33]
	v_fma_f64 v[32:33], v[231:232], s[18:19], v[34:35]
	v_fma_f64 v[34:35], v[237:238], s[22:23], -v[42:43]
	v_mul_f64_e32 v[42:43], s[54:55], v[253:254]
	v_add_f64_e32 v[28:29], v[28:29], v[94:95]
	s_delay_alu instid0(VALU_DEP_4) | instskip(NEXT) | instid1(VALU_DEP_2)
	v_add_f64_e32 v[32:33], v[32:33], v[72:73]
	v_add_f64_e32 v[28:29], v[34:35], v[28:29]
	v_fma_f64 v[34:35], v[239:240], s[10:11], v[44:45]
	v_fma_f64 v[44:45], v[237:238], s[50:51], v[42:43]
	s_delay_alu instid0(VALU_DEP_2) | instskip(SKIP_1) | instid1(VALU_DEP_1)
	v_add_f64_e32 v[32:33], v[34:35], v[32:33]
	v_fma_f64 v[34:35], v[20:21], s[50:51], -v[54:55]
	v_add_f64_e32 v[28:29], v[34:35], v[28:29]
	v_fma_f64 v[34:35], v[26:27], s[46:47], v[56:57]
	s_delay_alu instid0(VALU_DEP_1) | instskip(SKIP_1) | instid1(VALU_DEP_1)
	v_add_f64_e32 v[32:33], v[34:35], v[32:33]
	v_fma_f64 v[34:35], v[38:39], s[26:27], -v[66:67]
	v_add_f64_e32 v[28:29], v[34:35], v[28:29]
	v_fma_f64 v[34:35], v[40:41], s[52:53], v[74:75]
	s_delay_alu instid0(VALU_DEP_1) | instskip(SKIP_1) | instid1(VALU_DEP_1)
	v_add_f64_e32 v[32:33], v[34:35], v[32:33]
	v_fma_f64 v[34:35], v[50:51], s[12:13], -v[76:77]
	v_add_f64_e32 v[28:29], v[34:35], v[28:29]
	v_fma_f64 v[34:35], v[52:53], s[44:45], v[78:79]
	s_delay_alu instid0(VALU_DEP_1) | instskip(SKIP_2) | instid1(VALU_DEP_2)
	v_add_f64_e32 v[32:33], v[34:35], v[32:33]
	v_fma_f64 v[34:35], v[62:63], s[16:17], -v[180:181]
	v_mul_f64_e32 v[180:181], s[18:19], v[10:11]
	v_add_f64_e32 v[28:29], v[34:35], v[28:29]
	v_fma_f64 v[34:35], v[64:65], s[30:31], v[182:183]
	v_mul_f64_e32 v[182:183], s[8:9], v[12:13]
	s_delay_alu instid0(VALU_DEP_2) | instskip(SKIP_2) | instid1(VALU_DEP_3)
	v_add_f64_e32 v[32:33], v[34:35], v[32:33]
	v_fma_f64 v[34:35], v[14:15], s[24:25], -v[224:225]
	v_mul_f64_e32 v[224:225], s[14:15], v[22:23]
	v_add_f64_e32 v[74:75], v[30:31], v[32:33]
	s_delay_alu instid0(VALU_DEP_3) | instskip(SKIP_2) | instid1(VALU_DEP_2)
	v_add_f64_e32 v[72:73], v[34:35], v[28:29]
	v_mul_f64_e32 v[28:29], s[10:11], v[245:246]
	v_mul_f64_e32 v[32:33], s[22:23], v[247:248]
	v_fma_f64 v[30:31], v[229:230], s[22:23], v[28:29]
	s_delay_alu instid0(VALU_DEP_2) | instskip(SKIP_1) | instid1(VALU_DEP_3)
	v_fma_f64 v[34:35], v[231:232], s[48:49], v[32:33]
	v_fma_f64 v[28:29], v[229:230], s[22:23], -v[28:29]
	v_add_f64_e32 v[30:31], v[30:31], v[88:89]
	s_delay_alu instid0(VALU_DEP_3) | instskip(NEXT) | instid1(VALU_DEP_3)
	v_add_f64_e32 v[34:35], v[34:35], v[92:93]
	v_add_f64_e32 v[16:17], v[28:29], v[16:17]
	v_fma_f64 v[28:29], v[231:232], s[10:11], v[32:33]
	v_fma_f64 v[32:33], v[237:238], s[50:51], -v[42:43]
	v_add_f64_e32 v[30:31], v[44:45], v[30:31]
	v_mul_f64_e32 v[44:45], s[50:51], v[8:9]
	s_delay_alu instid0(VALU_DEP_4) | instskip(NEXT) | instid1(VALU_DEP_4)
	v_add_f64_e32 v[28:29], v[28:29], v[90:91]
	v_add_f64_e32 v[16:17], v[32:33], v[16:17]
	s_delay_alu instid0(VALU_DEP_3) | instskip(SKIP_1) | instid1(VALU_DEP_2)
	v_fma_f64 v[54:55], v[239:240], s[46:47], v[44:45]
	v_fma_f64 v[32:33], v[239:240], s[54:55], v[44:45]
	v_add_f64_e32 v[34:35], v[54:55], v[34:35]
	v_mul_f64_e32 v[54:55], s[44:45], v[0:1]
	s_delay_alu instid0(VALU_DEP_3) | instskip(NEXT) | instid1(VALU_DEP_2)
	v_add_f64_e32 v[28:29], v[32:33], v[28:29]
	v_fma_f64 v[56:57], v[20:21], s[12:13], v[54:55]
	v_fma_f64 v[32:33], v[20:21], s[12:13], -v[54:55]
	s_delay_alu instid0(VALU_DEP_2) | instskip(SKIP_1) | instid1(VALU_DEP_3)
	v_add_f64_e32 v[30:31], v[56:57], v[30:31]
	v_mul_f64_e32 v[56:57], s[12:13], v[36:37]
	v_add_f64_e32 v[16:17], v[32:33], v[16:17]
	s_delay_alu instid0(VALU_DEP_2) | instskip(SKIP_1) | instid1(VALU_DEP_2)
	v_fma_f64 v[66:67], v[26:27], s[0:1], v[56:57]
	v_fma_f64 v[32:33], v[26:27], s[44:45], v[56:57]
	v_add_f64_e32 v[34:35], v[66:67], v[34:35]
	v_mul_f64_e32 v[66:67], s[36:37], v[46:47]
	s_delay_alu instid0(VALU_DEP_3) | instskip(NEXT) | instid1(VALU_DEP_2)
	v_add_f64_e32 v[28:29], v[32:33], v[28:29]
	v_fma_f64 v[76:77], v[38:39], s[20:21], v[66:67]
	v_fma_f64 v[32:33], v[38:39], s[20:21], -v[66:67]
	s_delay_alu instid0(VALU_DEP_2) | instskip(SKIP_1) | instid1(VALU_DEP_3)
	v_add_f64_e32 v[30:31], v[76:77], v[30:31]
	v_mul_f64_e32 v[76:77], s[20:21], v[48:49]
	v_add_f64_e32 v[16:17], v[32:33], v[16:17]
	s_delay_alu instid0(VALU_DEP_2) | instskip(SKIP_1) | instid1(VALU_DEP_2)
	;; [unrolled: 13-line block ×3, first 2 shown]
	v_fma_f64 v[92:93], v[52:53], s[34:35], v[88:89]
	v_fma_f64 v[32:33], v[52:53], s[42:43], v[88:89]
	v_add_f64_e32 v[34:35], v[92:93], v[34:35]
	v_fma_f64 v[92:93], v[62:63], s[8:9], v[180:181]
	s_delay_alu instid0(VALU_DEP_3) | instskip(SKIP_2) | instid1(VALU_DEP_4)
	v_add_f64_e32 v[28:29], v[32:33], v[28:29]
	v_fma_f64 v[32:33], v[62:63], s[8:9], -v[180:181]
	v_mul_f64_e32 v[180:181], s[48:49], v[10:11]
	v_add_f64_e32 v[30:31], v[92:93], v[30:31]
	v_fma_f64 v[92:93], v[64:65], s[28:29], v[182:183]
	s_delay_alu instid0(VALU_DEP_4) | instskip(SKIP_2) | instid1(VALU_DEP_4)
	v_add_f64_e32 v[16:17], v[32:33], v[16:17]
	v_fma_f64 v[32:33], v[64:65], s[18:19], v[182:183]
	v_mul_f64_e32 v[182:183], s[22:23], v[12:13]
	v_add_f64_e32 v[34:35], v[92:93], v[34:35]
	v_fma_f64 v[92:93], v[14:15], s[26:27], v[224:225]
	s_delay_alu instid0(VALU_DEP_4) | instskip(SKIP_2) | instid1(VALU_DEP_4)
	v_add_f64_e32 v[28:29], v[32:33], v[28:29]
	v_fma_f64 v[32:33], v[14:15], s[26:27], -v[224:225]
	v_mul_f64_e32 v[224:225], s[36:37], v[22:23]
	v_add_f64_e32 v[92:93], v[92:93], v[30:31]
	v_mul_f64_e32 v[30:31], s[26:27], v[24:25]
	s_delay_alu instid0(VALU_DEP_4) | instskip(SKIP_1) | instid1(VALU_DEP_3)
	v_add_f64_e32 v[88:89], v[32:33], v[16:17]
	v_mul_f64_e32 v[16:17], s[46:47], v[245:246]
	v_fma_f64 v[94:95], v[18:19], s[52:53], v[30:31]
	v_fma_f64 v[30:31], v[18:19], s[14:15], v[30:31]
	s_delay_alu instid0(VALU_DEP_2) | instskip(NEXT) | instid1(VALU_DEP_2)
	v_add_f64_e32 v[94:95], v[94:95], v[34:35]
	v_add_f64_e32 v[90:91], v[30:31], v[28:29]
	v_fma_f64 v[28:29], v[229:230], s[50:51], v[16:17]
	v_mul_f64_e32 v[34:35], s[44:45], v[253:254]
	v_mul_f64_e32 v[30:31], s[50:51], v[247:248]
	v_fma_f64 v[16:17], v[229:230], s[50:51], -v[16:17]
	s_delay_alu instid0(VALU_DEP_4) | instskip(NEXT) | instid1(VALU_DEP_4)
	v_add_f64_e32 v[28:29], v[28:29], v[102:103]
	v_fma_f64 v[42:43], v[237:238], s[12:13], v[34:35]
	s_delay_alu instid0(VALU_DEP_4) | instskip(NEXT) | instid1(VALU_DEP_4)
	v_fma_f64 v[32:33], v[231:232], s[54:55], v[30:31]
	v_add_f64_e32 v[16:17], v[16:17], v[98:99]
	v_fma_f64 v[30:31], v[231:232], s[46:47], v[30:31]
	s_delay_alu instid0(VALU_DEP_4) | instskip(SKIP_2) | instid1(VALU_DEP_4)
	v_add_f64_e32 v[28:29], v[42:43], v[28:29]
	v_mul_f64_e32 v[42:43], s[12:13], v[8:9]
	v_add_f64_e32 v[32:33], v[32:33], v[100:101]
	v_add_f64_e32 v[30:31], v[30:31], v[96:97]
	s_delay_alu instid0(VALU_DEP_3) | instskip(NEXT) | instid1(VALU_DEP_1)
	v_fma_f64 v[44:45], v[239:240], s[0:1], v[42:43]
	v_add_f64_e32 v[32:33], v[44:45], v[32:33]
	v_mul_f64_e32 v[44:45], s[34:35], v[0:1]
	s_delay_alu instid0(VALU_DEP_1) | instskip(NEXT) | instid1(VALU_DEP_1)
	v_fma_f64 v[54:55], v[20:21], s[24:25], v[44:45]
	v_add_f64_e32 v[28:29], v[54:55], v[28:29]
	v_mul_f64_e32 v[54:55], s[24:25], v[36:37]
	s_delay_alu instid0(VALU_DEP_1) | instskip(NEXT) | instid1(VALU_DEP_1)
	;; [unrolled: 4-line block ×6, first 2 shown]
	v_fma_f64 v[100:101], v[52:53], s[52:53], v[78:79]
	v_add_f64_e32 v[32:33], v[100:101], v[32:33]
	v_fma_f64 v[100:101], v[62:63], s[22:23], v[180:181]
	s_delay_alu instid0(VALU_DEP_1) | instskip(SKIP_1) | instid1(VALU_DEP_1)
	v_add_f64_e32 v[28:29], v[100:101], v[28:29]
	v_fma_f64 v[100:101], v[64:65], s[10:11], v[182:183]
	v_add_f64_e32 v[32:33], v[100:101], v[32:33]
	v_fma_f64 v[100:101], v[14:15], s[20:21], v[224:225]
	s_delay_alu instid0(VALU_DEP_1) | instskip(SKIP_1) | instid1(VALU_DEP_1)
	v_add_f64_e32 v[100:101], v[100:101], v[28:29]
	v_mul_f64_e32 v[28:29], s[20:21], v[24:25]
	v_fma_f64 v[102:103], v[18:19], s[40:41], v[28:29]
	v_fma_f64 v[28:29], v[18:19], s[36:37], v[28:29]
	s_delay_alu instid0(VALU_DEP_2) | instskip(SKIP_2) | instid1(VALU_DEP_2)
	v_add_f64_e32 v[102:103], v[102:103], v[32:33]
	v_fma_f64 v[32:33], v[237:238], s[12:13], -v[34:35]
	v_mul_f64_e32 v[34:35], s[36:37], v[253:254]
	v_add_f64_e32 v[16:17], v[32:33], v[16:17]
	v_fma_f64 v[32:33], v[239:240], s[44:45], v[42:43]
	s_delay_alu instid0(VALU_DEP_3) | instskip(NEXT) | instid1(VALU_DEP_2)
	v_fma_f64 v[42:43], v[237:238], s[20:21], v[34:35]
	v_add_f64_e32 v[30:31], v[32:33], v[30:31]
	v_fma_f64 v[32:33], v[20:21], s[24:25], -v[44:45]
	s_delay_alu instid0(VALU_DEP_1) | instskip(SKIP_1) | instid1(VALU_DEP_1)
	v_add_f64_e32 v[16:17], v[32:33], v[16:17]
	v_fma_f64 v[32:33], v[26:27], s[34:35], v[54:55]
	v_add_f64_e32 v[30:31], v[32:33], v[30:31]
	v_fma_f64 v[32:33], v[38:39], s[16:17], -v[56:57]
	s_delay_alu instid0(VALU_DEP_1) | instskip(SKIP_1) | instid1(VALU_DEP_1)
	v_add_f64_e32 v[16:17], v[32:33], v[16:17]
	;; [unrolled: 5-line block ×3, first 2 shown]
	v_fma_f64 v[32:33], v[52:53], s[14:15], v[78:79]
	v_add_f64_e32 v[30:31], v[32:33], v[30:31]
	v_fma_f64 v[32:33], v[62:63], s[22:23], -v[180:181]
	v_mul_f64_e32 v[180:181], s[42:43], v[10:11]
	s_delay_alu instid0(VALU_DEP_2) | instskip(SKIP_2) | instid1(VALU_DEP_2)
	v_add_f64_e32 v[16:17], v[32:33], v[16:17]
	v_fma_f64 v[32:33], v[64:65], s[48:49], v[182:183]
	v_mul_f64_e32 v[182:183], s[24:25], v[12:13]
	v_add_f64_e32 v[30:31], v[32:33], v[30:31]
	v_fma_f64 v[32:33], v[14:15], s[20:21], -v[224:225]
	v_mul_f64_e32 v[224:225], s[10:11], v[22:23]
	s_delay_alu instid0(VALU_DEP_3) | instskip(NEXT) | instid1(VALU_DEP_3)
	v_add_f64_e32 v[98:99], v[28:29], v[30:31]
	v_add_f64_e32 v[96:97], v[32:33], v[16:17]
	v_mul_f64_e32 v[16:17], s[52:53], v[245:246]
	v_mul_f64_e32 v[30:31], s[26:27], v[247:248]
	s_delay_alu instid0(VALU_DEP_2) | instskip(NEXT) | instid1(VALU_DEP_2)
	v_fma_f64 v[28:29], v[229:230], s[26:27], v[16:17]
	v_fma_f64 v[32:33], v[231:232], s[14:15], v[30:31]
	v_fma_f64 v[16:17], v[229:230], s[26:27], -v[16:17]
	v_fma_f64 v[30:31], v[231:232], s[52:53], v[30:31]
	s_delay_alu instid0(VALU_DEP_4) | instskip(NEXT) | instid1(VALU_DEP_4)
	v_add_f64_e32 v[28:29], v[28:29], v[106:107]
	v_add_f64_e32 v[32:33], v[32:33], v[104:105]
	s_delay_alu instid0(VALU_DEP_4) | instskip(NEXT) | instid1(VALU_DEP_4)
	v_add_f64_e32 v[16:17], v[16:17], v[110:111]
	v_add_f64_e32 v[30:31], v[30:31], v[108:109]
	s_delay_alu instid0(VALU_DEP_4) | instskip(SKIP_1) | instid1(VALU_DEP_1)
	v_add_f64_e32 v[28:29], v[42:43], v[28:29]
	v_mul_f64_e32 v[42:43], s[20:21], v[8:9]
	v_fma_f64 v[44:45], v[239:240], s[40:41], v[42:43]
	s_delay_alu instid0(VALU_DEP_1) | instskip(SKIP_1) | instid1(VALU_DEP_1)
	v_add_f64_e32 v[32:33], v[44:45], v[32:33]
	v_mul_f64_e32 v[44:45], s[38:39], v[0:1]
	v_fma_f64 v[54:55], v[20:21], s[16:17], v[44:45]
	s_delay_alu instid0(VALU_DEP_1) | instskip(SKIP_1) | instid1(VALU_DEP_1)
	;; [unrolled: 4-line block ×7, first 2 shown]
	v_add_f64_e32 v[32:33], v[104:105], v[32:33]
	v_fma_f64 v[104:105], v[62:63], s[24:25], v[180:181]
	v_add_f64_e32 v[28:29], v[104:105], v[28:29]
	v_fma_f64 v[104:105], v[64:65], s[34:35], v[182:183]
	s_delay_alu instid0(VALU_DEP_1) | instskip(SKIP_1) | instid1(VALU_DEP_1)
	v_add_f64_e32 v[32:33], v[104:105], v[32:33]
	v_fma_f64 v[104:105], v[14:15], s[22:23], v[224:225]
	v_add_f64_e32 v[104:105], v[104:105], v[28:29]
	v_mul_f64_e32 v[28:29], s[22:23], v[24:25]
	s_delay_alu instid0(VALU_DEP_1) | instskip(SKIP_1) | instid1(VALU_DEP_2)
	v_fma_f64 v[106:107], v[18:19], s[48:49], v[28:29]
	v_fma_f64 v[28:29], v[18:19], s[10:11], v[28:29]
	v_add_f64_e32 v[106:107], v[106:107], v[32:33]
	v_fma_f64 v[32:33], v[237:238], s[20:21], -v[34:35]
	s_delay_alu instid0(VALU_DEP_1) | instskip(SKIP_1) | instid1(VALU_DEP_1)
	v_add_f64_e32 v[16:17], v[32:33], v[16:17]
	v_fma_f64 v[32:33], v[239:240], s[36:37], v[42:43]
	v_add_f64_e32 v[30:31], v[32:33], v[30:31]
	v_fma_f64 v[32:33], v[20:21], s[16:17], -v[44:45]
	s_delay_alu instid0(VALU_DEP_1) | instskip(SKIP_1) | instid1(VALU_DEP_1)
	v_add_f64_e32 v[16:17], v[32:33], v[16:17]
	;; [unrolled: 5-line block ×4, first 2 shown]
	v_fma_f64 v[32:33], v[52:53], s[28:29], v[78:79]
	v_add_f64_e32 v[30:31], v[32:33], v[30:31]
	v_fma_f64 v[32:33], v[62:63], s[24:25], -v[180:181]
	s_delay_alu instid0(VALU_DEP_1) | instskip(SKIP_2) | instid1(VALU_DEP_2)
	v_add_f64_e32 v[16:17], v[32:33], v[16:17]
	v_fma_f64 v[32:33], v[64:65], s[42:43], v[182:183]
	v_mul_f64_e32 v[182:183], s[30:31], v[22:23]
	v_add_f64_e32 v[30:31], v[32:33], v[30:31]
	v_fma_f64 v[32:33], v[14:15], s[22:23], -v[224:225]
	v_mul_f64_e32 v[224:225], s[16:17], v[24:25]
	s_delay_alu instid0(VALU_DEP_3) | instskip(NEXT) | instid1(VALU_DEP_3)
	v_add_f64_e32 v[110:111], v[28:29], v[30:31]
	v_add_f64_e32 v[108:109], v[32:33], v[16:17]
	v_mul_f64_e32 v[16:17], s[44:45], v[245:246]
	s_delay_alu instid0(VALU_DEP_1) | instskip(SKIP_1) | instid1(VALU_DEP_2)
	v_fma_f64 v[28:29], v[229:230], s[12:13], v[16:17]
	v_fma_f64 v[16:17], v[229:230], s[12:13], -v[16:17]
	v_add_f64_e32 v[6:7], v[28:29], v[6:7]
	v_mul_f64_e32 v[28:29], s[12:13], v[247:248]
	s_delay_alu instid0(VALU_DEP_3) | instskip(NEXT) | instid1(VALU_DEP_2)
	v_add_f64_e32 v[16:17], v[16:17], v[251:252]
	v_fma_f64 v[30:31], v[231:232], s[0:1], v[28:29]
	v_fma_f64 v[28:29], v[231:232], s[44:45], v[28:29]
	s_delay_alu instid0(VALU_DEP_2) | instskip(SKIP_1) | instid1(VALU_DEP_3)
	v_add_f64_e32 v[4:5], v[30:31], v[4:5]
	v_mul_f64_e32 v[30:31], s[42:43], v[253:254]
	v_add_f64_e32 v[28:29], v[28:29], v[249:250]
	v_mul_f64_e32 v[249:250], s[0:1], v[22:23]
	v_mul_f64_e32 v[22:23], s[28:29], v[22:23]
	s_delay_alu instid0(VALU_DEP_4) | instskip(SKIP_1) | instid1(VALU_DEP_2)
	v_fma_f64 v[32:33], v[237:238], s[24:25], v[30:31]
	v_fma_f64 v[30:31], v[237:238], s[24:25], -v[30:31]
	v_add_f64_e32 v[6:7], v[32:33], v[6:7]
	v_mul_f64_e32 v[32:33], s[24:25], v[8:9]
	s_delay_alu instid0(VALU_DEP_3) | instskip(NEXT) | instid1(VALU_DEP_2)
	v_add_f64_e32 v[16:17], v[30:31], v[16:17]
	v_fma_f64 v[34:35], v[239:240], s[34:35], v[32:33]
	v_fma_f64 v[30:31], v[239:240], s[42:43], v[32:33]
	;; [unrolled: 1-line block ×3, first 2 shown]
	s_delay_alu instid0(VALU_DEP_3) | instskip(SKIP_1) | instid1(VALU_DEP_4)
	v_add_f64_e32 v[4:5], v[34:35], v[4:5]
	v_mul_f64_e32 v[34:35], s[14:15], v[0:1]
	v_add_f64_e32 v[28:29], v[30:31], v[28:29]
	s_delay_alu instid0(VALU_DEP_2) | instskip(SKIP_1) | instid1(VALU_DEP_2)
	v_fma_f64 v[42:43], v[20:21], s[26:27], v[34:35]
	v_fma_f64 v[30:31], v[20:21], s[26:27], -v[34:35]
	v_add_f64_e32 v[6:7], v[42:43], v[6:7]
	v_mul_f64_e32 v[42:43], s[26:27], v[36:37]
	s_delay_alu instid0(VALU_DEP_3) | instskip(NEXT) | instid1(VALU_DEP_2)
	v_add_f64_e32 v[16:17], v[30:31], v[16:17]
	v_fma_f64 v[44:45], v[26:27], s[52:53], v[42:43]
	v_fma_f64 v[30:31], v[26:27], s[14:15], v[42:43]
	v_mul_f64_e32 v[42:43], s[16:17], v[247:248]
	s_delay_alu instid0(VALU_DEP_3) | instskip(SKIP_1) | instid1(VALU_DEP_4)
	v_add_f64_e32 v[4:5], v[44:45], v[4:5]
	v_mul_f64_e32 v[44:45], s[28:29], v[46:47]
	v_add_f64_e32 v[28:29], v[30:31], v[28:29]
	s_delay_alu instid0(VALU_DEP_2) | instskip(SKIP_2) | instid1(VALU_DEP_3)
	v_fma_f64 v[54:55], v[38:39], s[8:9], v[44:45]
	v_fma_f64 v[30:31], v[38:39], s[8:9], -v[44:45]
	v_mul_f64_e32 v[44:45], s[18:19], v[253:254]
	v_add_f64_e32 v[6:7], v[54:55], v[6:7]
	v_mul_f64_e32 v[54:55], s[8:9], v[48:49]
	s_delay_alu instid0(VALU_DEP_4) | instskip(NEXT) | instid1(VALU_DEP_4)
	v_add_f64_e32 v[16:17], v[30:31], v[16:17]
	v_fma_f64 v[34:35], v[237:238], s[8:9], v[44:45]
	v_fma_f64 v[44:45], v[237:238], s[8:9], -v[44:45]
	s_delay_alu instid0(VALU_DEP_4) | instskip(SKIP_3) | instid1(VALU_DEP_4)
	v_fma_f64 v[56:57], v[40:41], s[18:19], v[54:55]
	v_fma_f64 v[30:31], v[40:41], s[28:29], v[54:55]
	v_mul_f64_e32 v[54:55], s[8:9], v[8:9]
	v_mul_f64_e32 v[8:9], s[26:27], v[8:9]
	v_add_f64_e32 v[4:5], v[56:57], v[4:5]
	v_mul_f64_e32 v[56:57], s[40:41], v[58:59]
	v_add_f64_e32 v[28:29], v[30:31], v[28:29]
	s_delay_alu instid0(VALU_DEP_2) | instskip(SKIP_2) | instid1(VALU_DEP_3)
	v_fma_f64 v[66:67], v[50:51], s[20:21], v[56:57]
	v_fma_f64 v[30:31], v[50:51], s[20:21], -v[56:57]
	v_mul_f64_e32 v[56:57], s[48:49], v[0:1]
	v_add_f64_e32 v[6:7], v[66:67], v[6:7]
	v_mul_f64_e32 v[66:67], s[20:21], v[60:61]
	s_delay_alu instid0(VALU_DEP_4) | instskip(NEXT) | instid1(VALU_DEP_2)
	v_add_f64_e32 v[16:17], v[30:31], v[16:17]
	v_fma_f64 v[76:77], v[52:53], s[36:37], v[66:67]
	v_fma_f64 v[30:31], v[52:53], s[40:41], v[66:67]
	v_mul_f64_e32 v[66:67], s[22:23], v[36:37]
	v_mul_f64_e32 v[36:37], s[20:21], v[36:37]
	s_delay_alu instid0(VALU_DEP_4) | instskip(SKIP_2) | instid1(VALU_DEP_2)
	v_add_f64_e32 v[4:5], v[76:77], v[4:5]
	v_mul_f64_e32 v[76:77], s[46:47], v[10:11]
	v_add_f64_e32 v[28:29], v[30:31], v[28:29]
	v_fma_f64 v[78:79], v[62:63], s[50:51], v[76:77]
	v_fma_f64 v[30:31], v[62:63], s[50:51], -v[76:77]
	v_mul_f64_e32 v[76:77], s[42:43], v[46:47]
	v_mul_f64_e32 v[46:47], s[10:11], v[46:47]
	s_delay_alu instid0(VALU_DEP_4) | instskip(SKIP_2) | instid1(VALU_DEP_2)
	v_add_f64_e32 v[6:7], v[78:79], v[6:7]
	v_mul_f64_e32 v[78:79], s[50:51], v[12:13]
	v_add_f64_e32 v[16:17], v[30:31], v[16:17]
	v_fma_f64 v[30:31], v[64:65], s[46:47], v[78:79]
	v_fma_f64 v[180:181], v[64:65], s[54:55], v[78:79]
	v_mul_f64_e32 v[78:79], s[24:25], v[48:49]
	v_mul_f64_e32 v[48:49], s[22:23], v[48:49]
	s_delay_alu instid0(VALU_DEP_4)
	v_add_f64_e32 v[30:31], v[30:31], v[28:29]
	v_fma_f64 v[28:29], v[14:15], s[16:17], -v[182:183]
	v_add_f64_e32 v[180:181], v[180:181], v[4:5]
	v_fma_f64 v[4:5], v[14:15], s[16:17], v[182:183]
	v_mul_f64_e32 v[182:183], s[36:37], v[10:11]
	v_mul_f64_e32 v[10:11], s[0:1], v[10:11]
	v_add_f64_e32 v[30:31], v[32:33], v[30:31]
	v_add_f64_e32 v[28:29], v[28:29], v[16:17]
	v_mul_f64_e32 v[16:17], s[30:31], v[245:246]
	v_add_f64_e32 v[4:5], v[4:5], v[6:7]
	v_fma_f64 v[6:7], v[18:19], s[38:39], v[224:225]
	v_mul_f64_e32 v[224:225], s[20:21], v[12:13]
	v_mul_f64_e32 v[12:13], s[12:13], v[12:13]
	v_fma_f64 v[32:33], v[229:230], s[16:17], v[16:17]
	v_fma_f64 v[16:17], v[229:230], s[16:17], -v[16:17]
	v_add_f64_e32 v[6:7], v[6:7], v[180:181]
	v_mul_f64_e32 v[180:181], s[50:51], v[60:61]
	s_delay_alu instid0(VALU_DEP_4) | instskip(SKIP_3) | instid1(VALU_DEP_4)
	v_add_f64_e32 v[2:3], v[32:33], v[2:3]
	v_fma_f64 v[32:33], v[231:232], s[38:39], v[42:43]
	v_add_f64_e32 v[16:17], v[16:17], v[243:244]
	v_fma_f64 v[42:43], v[231:232], s[30:31], v[42:43]
	v_add_f64_e32 v[2:3], v[34:35], v[2:3]
	s_delay_alu instid0(VALU_DEP_4) | instskip(SKIP_1) | instid1(VALU_DEP_4)
	v_add_f64_e32 v[32:33], v[32:33], v[126:127]
	v_fma_f64 v[34:35], v[239:240], s[28:29], v[54:55]
	v_add_f64_e32 v[42:43], v[42:43], v[222:223]
	v_add_f64_e32 v[16:17], v[44:45], v[16:17]
	v_fma_f64 v[44:45], v[239:240], s[18:19], v[54:55]
	v_mul_f64_e32 v[126:127], s[46:47], v[58:59]
	v_mul_f64_e32 v[54:55], s[24:25], v[247:248]
	v_add_f64_e32 v[32:33], v[34:35], v[32:33]
	v_fma_f64 v[34:35], v[20:21], s[22:23], v[56:57]
	v_add_f64_e32 v[42:43], v[44:45], v[42:43]
	v_fma_f64 v[44:45], v[20:21], s[22:23], -v[56:57]
	v_fma_f64 v[56:57], v[231:232], s[42:43], v[54:55]
	v_fma_f64 v[54:55], v[231:232], s[34:35], v[54:55]
	v_add_f64_e32 v[2:3], v[34:35], v[2:3]
	v_fma_f64 v[34:35], v[26:27], s[10:11], v[66:67]
	v_add_f64_e32 v[16:17], v[44:45], v[16:17]
	v_fma_f64 v[44:45], v[26:27], s[48:49], v[66:67]
	v_mul_f64_e32 v[66:67], s[14:15], v[253:254]
	v_add_f64_e32 v[56:57], v[56:57], v[233:234]
	v_add_f64_e32 v[54:55], v[54:55], v[227:228]
	;; [unrolled: 1-line block ×3, first 2 shown]
	v_fma_f64 v[34:35], v[38:39], s[24:25], v[76:77]
	v_add_f64_e32 v[42:43], v[44:45], v[42:43]
	v_fma_f64 v[44:45], v[38:39], s[24:25], -v[76:77]
	v_fma_f64 v[76:77], v[237:238], s[26:27], v[66:67]
	s_delay_alu instid0(VALU_DEP_4) | instskip(SKIP_1) | instid1(VALU_DEP_4)
	v_add_f64_e32 v[2:3], v[34:35], v[2:3]
	v_fma_f64 v[34:35], v[40:41], s[34:35], v[78:79]
	v_add_f64_e32 v[16:17], v[44:45], v[16:17]
	v_fma_f64 v[44:45], v[40:41], s[42:43], v[78:79]
	s_delay_alu instid0(VALU_DEP_3) | instskip(SKIP_1) | instid1(VALU_DEP_3)
	v_add_f64_e32 v[32:33], v[34:35], v[32:33]
	v_fma_f64 v[34:35], v[50:51], s[50:51], v[126:127]
	v_add_f64_e32 v[42:43], v[44:45], v[42:43]
	v_fma_f64 v[44:45], v[50:51], s[50:51], -v[126:127]
	s_delay_alu instid0(VALU_DEP_3) | instskip(SKIP_1) | instid1(VALU_DEP_3)
	v_add_f64_e32 v[2:3], v[34:35], v[2:3]
	v_fma_f64 v[34:35], v[52:53], s[54:55], v[180:181]
	v_add_f64_e32 v[16:17], v[44:45], v[16:17]
	v_fma_f64 v[44:45], v[52:53], s[46:47], v[180:181]
	s_delay_alu instid0(VALU_DEP_3) | instskip(SKIP_1) | instid1(VALU_DEP_3)
	v_add_f64_e32 v[32:33], v[34:35], v[32:33]
	v_fma_f64 v[34:35], v[62:63], s[20:21], v[182:183]
	v_add_f64_e32 v[42:43], v[44:45], v[42:43]
	v_fma_f64 v[44:45], v[62:63], s[20:21], -v[182:183]
	s_delay_alu instid0(VALU_DEP_3) | instskip(SKIP_1) | instid1(VALU_DEP_3)
	v_add_f64_e32 v[2:3], v[34:35], v[2:3]
	v_fma_f64 v[34:35], v[64:65], s[40:41], v[224:225]
	v_add_f64_e32 v[16:17], v[44:45], v[16:17]
	v_fma_f64 v[44:45], v[64:65], s[36:37], v[224:225]
	s_delay_alu instid0(VALU_DEP_3) | instskip(SKIP_1) | instid1(VALU_DEP_3)
	v_add_f64_e32 v[34:35], v[34:35], v[32:33]
	v_fma_f64 v[32:33], v[14:15], s[12:13], v[249:250]
	v_add_f64_e32 v[44:45], v[44:45], v[42:43]
	v_fma_f64 v[42:43], v[14:15], s[12:13], -v[249:250]
	s_delay_alu instid0(VALU_DEP_3) | instskip(SKIP_2) | instid1(VALU_DEP_4)
	v_add_f64_e32 v[32:33], v[32:33], v[2:3]
	v_mul_f64_e32 v[2:3], s[12:13], v[24:25]
	v_mul_f64_e32 v[24:25], s[8:9], v[24:25]
	v_add_f64_e32 v[42:43], v[42:43], v[16:17]
	v_mul_f64_e32 v[16:17], s[34:35], v[245:246]
	s_delay_alu instid0(VALU_DEP_4) | instskip(SKIP_1) | instid1(VALU_DEP_2)
	v_fma_f64 v[251:252], v[18:19], s[44:45], v[2:3]
	v_fma_f64 v[2:3], v[18:19], s[0:1], v[2:3]
	v_add_f64_e32 v[34:35], v[251:252], v[34:35]
	s_delay_alu instid0(VALU_DEP_2) | instskip(SKIP_2) | instid1(VALU_DEP_2)
	v_add_f64_e32 v[44:45], v[2:3], v[44:45]
	v_fma_f64 v[2:3], v[229:230], s[24:25], v[16:17]
	v_fma_f64 v[16:17], v[229:230], s[24:25], -v[16:17]
	v_add_f64_e32 v[2:3], v[2:3], v[235:236]
	s_delay_alu instid0(VALU_DEP_1) | instskip(SKIP_2) | instid1(VALU_DEP_2)
	v_add_f64_e32 v[2:3], v[76:77], v[2:3]
	v_fma_f64 v[76:77], v[239:240], s[52:53], v[8:9]
	v_fma_f64 v[8:9], v[239:240], s[14:15], v[8:9]
	v_add_f64_e32 v[56:57], v[76:77], v[56:57]
	v_mul_f64_e32 v[76:77], s[36:37], v[0:1]
	s_delay_alu instid0(VALU_DEP_3) | instskip(NEXT) | instid1(VALU_DEP_2)
	v_add_f64_e32 v[8:9], v[8:9], v[54:55]
	v_fma_f64 v[0:1], v[20:21], s[20:21], v[76:77]
	v_fma_f64 v[20:21], v[20:21], s[20:21], -v[76:77]
	s_delay_alu instid0(VALU_DEP_2) | instskip(SKIP_2) | instid1(VALU_DEP_2)
	v_add_f64_e32 v[0:1], v[0:1], v[2:3]
	v_fma_f64 v[2:3], v[26:27], s[40:41], v[36:37]
	v_fma_f64 v[26:27], v[26:27], s[36:37], v[36:37]
	v_add_f64_e32 v[2:3], v[2:3], v[56:57]
	v_fma_f64 v[56:57], v[38:39], s[22:23], v[46:47]
	s_delay_alu instid0(VALU_DEP_3) | instskip(SKIP_1) | instid1(VALU_DEP_3)
	v_add_f64_e32 v[8:9], v[26:27], v[8:9]
	v_fma_f64 v[26:27], v[40:41], s[10:11], v[48:49]
	v_add_f64_e32 v[0:1], v[56:57], v[0:1]
	v_fma_f64 v[56:57], v[40:41], s[48:49], v[48:49]
	s_delay_alu instid0(VALU_DEP_3) | instskip(NEXT) | instid1(VALU_DEP_2)
	v_add_f64_e32 v[8:9], v[26:27], v[8:9]
	v_add_f64_e32 v[2:3], v[56:57], v[2:3]
	v_mul_f64_e32 v[56:57], s[30:31], v[58:59]
	s_delay_alu instid0(VALU_DEP_1) | instskip(NEXT) | instid1(VALU_DEP_1)
	v_fma_f64 v[58:59], v[50:51], s[16:17], v[56:57]
	v_add_f64_e32 v[0:1], v[58:59], v[0:1]
	v_mul_f64_e32 v[58:59], s[16:17], v[60:61]
	s_delay_alu instid0(VALU_DEP_1) | instskip(SKIP_1) | instid1(VALU_DEP_2)
	v_fma_f64 v[60:61], v[52:53], s[38:39], v[58:59]
	v_fma_f64 v[26:27], v[52:53], s[30:31], v[58:59]
	v_add_f64_e32 v[2:3], v[60:61], v[2:3]
	v_fma_f64 v[60:61], v[62:63], s[12:13], v[10:11]
	s_delay_alu instid0(VALU_DEP_3) | instskip(SKIP_1) | instid1(VALU_DEP_3)
	v_add_f64_e32 v[8:9], v[26:27], v[8:9]
	v_fma_f64 v[10:11], v[62:63], s[12:13], -v[10:11]
	v_add_f64_e32 v[0:1], v[60:61], v[0:1]
	v_fma_f64 v[60:61], v[64:65], s[44:45], v[12:13]
	v_fma_f64 v[12:13], v[64:65], s[0:1], v[12:13]
	s_delay_alu instid0(VALU_DEP_2) | instskip(SKIP_1) | instid1(VALU_DEP_3)
	v_add_f64_e32 v[2:3], v[60:61], v[2:3]
	v_fma_f64 v[60:61], v[14:15], s[8:9], v[22:23]
	v_add_f64_e32 v[12:13], v[12:13], v[8:9]
	v_fma_f64 v[8:9], v[14:15], s[8:9], -v[22:23]
	v_fma_f64 v[14:15], v[18:19], s[28:29], v[24:25]
	s_delay_alu instid0(VALU_DEP_4) | instskip(SKIP_1) | instid1(VALU_DEP_1)
	v_add_f64_e32 v[0:1], v[60:61], v[0:1]
	v_fma_f64 v[60:61], v[18:19], s[18:19], v[24:25]
	v_add_f64_e32 v[2:3], v[60:61], v[2:3]
	scratch_load_b64 v[60:61], off, off offset:332 th:TH_LOAD_LU ; 8-byte Folded Reload
	s_wait_loadcnt 0x0
	v_add_f64_e32 v[16:17], v[16:17], v[60:61]
	v_fma_f64 v[60:61], v[237:238], s[26:27], -v[66:67]
	s_delay_alu instid0(VALU_DEP_1) | instskip(NEXT) | instid1(VALU_DEP_1)
	v_add_f64_e32 v[16:17], v[60:61], v[16:17]
	v_add_f64_e32 v[16:17], v[20:21], v[16:17]
	v_fma_f64 v[20:21], v[38:39], s[22:23], -v[46:47]
	s_delay_alu instid0(VALU_DEP_1) | instskip(SKIP_1) | instid1(VALU_DEP_1)
	v_add_f64_e32 v[16:17], v[20:21], v[16:17]
	v_fma_f64 v[20:21], v[50:51], s[16:17], -v[56:57]
	v_add_f64_e32 v[16:17], v[20:21], v[16:17]
	s_delay_alu instid0(VALU_DEP_1) | instskip(NEXT) | instid1(VALU_DEP_1)
	v_add_f64_e32 v[10:11], v[10:11], v[16:17]
	v_add_f64_e32 v[8:9], v[8:9], v[10:11]
	;; [unrolled: 1-line block ×3, first 2 shown]
	s_clause 0x1
	scratch_load_b64 v[12:13], off, off offset:300 th:TH_LOAD_LU
	scratch_load_b64 v[14:15], off, off offset:316 th:TH_LOAD_LU
	global_wb scope:SCOPE_SE
	s_wait_loadcnt 0x0
	s_wait_storecnt 0x0
	s_barrier_signal -1
	s_barrier_wait -1
	global_inv scope:SCOPE_SE
	v_add_f64_e32 v[12:13], v[12:13], v[184:185]
	v_add_f64_e32 v[14:15], v[14:15], v[186:187]
	s_delay_alu instid0(VALU_DEP_2) | instskip(NEXT) | instid1(VALU_DEP_2)
	v_add_f64_e32 v[12:13], v[12:13], v[188:189]
	v_add_f64_e32 v[14:15], v[14:15], v[190:191]
	s_delay_alu instid0(VALU_DEP_2) | instskip(NEXT) | instid1(VALU_DEP_2)
	;; [unrolled: 3-line block ×14, first 2 shown]
	v_add_f64_e32 v[12:13], v[12:13], v[124:125]
	v_add_f64_e32 v[14:15], v[14:15], v[134:135]
	ds_store_b128 v241, v[84:87] offset:544
	ds_store_b128 v241, v[92:95] offset:816
	;; [unrolled: 1-line block ×16, first 2 shown]
	ds_store_b128 v241, v[12:15]
	global_wb scope:SCOPE_SE
	s_wait_dscnt 0x0
	s_barrier_signal -1
	s_barrier_wait -1
	global_inv scope:SCOPE_SE
	ds_load_b128 v[80:83], v255
	ds_load_b128 v[84:87], v255 offset:816
	ds_load_b128 v[100:103], v255 offset:9248
	;; [unrolled: 1-line block ×14, first 2 shown]
	s_and_saveexec_b32 s0, vcc_lo
	s_cbranch_execz .LBB0_7
; %bb.6:
	ds_load_b128 v[72:75], v255 offset:4080
	ds_load_b128 v[68:71], v255 offset:8704
	ds_load_b128 v[0:3], v255 offset:13328
	s_wait_dscnt 0x0
	scratch_store_b128 off, v[0:3], off offset:4 ; 16-byte Folded Spill
.LBB0_7:
	s_wait_alu 0xfffe
	s_or_b32 exec_lo, exec_lo, s0
	s_wait_dscnt 0x4
	v_mul_f64_e32 v[0:1], v[138:139], v[186:187]
	v_mul_f64_e32 v[2:3], v[142:143], v[102:103]
	;; [unrolled: 1-line block ×12, first 2 shown]
	s_wait_dscnt 0x2
	v_mul_f64_e32 v[24:25], v[162:163], v[134:135]
	v_mul_f64_e32 v[26:27], v[170:171], v[122:123]
	v_mul_f64_e32 v[28:29], v[162:163], v[132:133]
	v_mul_f64_e32 v[30:31], v[170:171], v[120:121]
	s_wait_dscnt 0x1
	v_mul_f64_e32 v[32:33], v[174:175], v[126:127]
	s_wait_dscnt 0x0
	v_mul_f64_e32 v[34:35], v[178:179], v[130:131]
	v_mul_f64_e32 v[36:37], v[174:175], v[124:125]
	;; [unrolled: 1-line block ×3, first 2 shown]
	s_mov_b32 s0, 0xe8584caa
	s_mov_b32 s1, 0xbfebb67a
	;; [unrolled: 1-line block ×3, first 2 shown]
	s_wait_alu 0xfffe
	s_mov_b32 s8, s0
	v_fma_f64 v[0:1], v[136:137], v[184:185], v[0:1]
	v_fma_f64 v[2:3], v[140:141], v[100:101], v[2:3]
	v_fma_f64 v[4:5], v[136:137], v[186:187], -v[4:5]
	v_fma_f64 v[6:7], v[140:141], v[102:103], -v[6:7]
	v_fma_f64 v[8:9], v[144:145], v[108:109], v[8:9]
	v_fma_f64 v[10:11], v[148:149], v[104:105], v[10:11]
	v_fma_f64 v[12:13], v[144:145], v[110:111], -v[12:13]
	v_fma_f64 v[14:15], v[148:149], v[106:107], -v[14:15]
	;; [unrolled: 4-line block ×5, first 2 shown]
	v_add_f64_e32 v[60:61], v[80:81], v[0:1]
	v_add_f64_e32 v[40:41], v[0:1], v[2:3]
	;; [unrolled: 1-line block ×3, first 2 shown]
	v_add_f64_e64 v[62:63], v[4:5], -v[6:7]
	v_add_f64_e32 v[44:45], v[8:9], v[10:11]
	v_add_f64_e32 v[4:5], v[82:83], v[4:5]
	;; [unrolled: 1-line block ×17, first 2 shown]
	v_fma_f64 v[40:41], v[40:41], -0.5, v[80:81]
	v_add_f64_e64 v[80:81], v[0:1], -v[2:3]
	v_fma_f64 v[42:43], v[42:43], -0.5, v[82:83]
	v_add_f64_e64 v[82:83], v[12:13], -v[14:15]
	;; [unrolled: 2-line block ×9, first 2 shown]
	v_fma_f64 v[58:59], v[58:59], -0.5, v[98:99]
	v_add_f64_e32 v[0:1], v[60:61], v[2:3]
	v_add_f64_e32 v[2:3], v[4:5], v[6:7]
	;; [unrolled: 1-line block ×10, first 2 shown]
	s_wait_alu 0xfffe
	v_fma_f64 v[24:25], v[62:63], s[8:9], v[40:41]
	v_fma_f64 v[20:21], v[62:63], s[0:1], v[40:41]
	;; [unrolled: 1-line block ×20, first 2 shown]
	ds_store_b128 v255, v[0:3]
	ds_store_b128 v255, v[4:7] offset:816
	ds_store_b128 v255, v[8:11] offset:1632
	;; [unrolled: 1-line block ×14, first 2 shown]
	s_and_saveexec_b32 s10, vcc_lo
	s_cbranch_execz .LBB0_9
; %bb.8:
	s_clause 0x1
	scratch_load_b128 v[8:11], off, off offset:428 th:TH_LOAD_LU
	scratch_load_b128 v[12:15], off, off offset:4 th:TH_LOAD_LU
	s_wait_loadcnt 0x1
	v_mul_f64_e32 v[0:1], v[10:11], v[68:69]
	s_wait_loadcnt 0x0
	v_mul_f64_e32 v[2:3], v[166:167], v[12:13]
	v_mul_f64_e32 v[4:5], v[10:11], v[70:71]
	;; [unrolled: 1-line block ×3, first 2 shown]
	s_delay_alu instid0(VALU_DEP_4) | instskip(NEXT) | instid1(VALU_DEP_4)
	v_fma_f64 v[0:1], v[8:9], v[70:71], -v[0:1]
	v_fma_f64 v[2:3], v[164:165], v[14:15], -v[2:3]
	s_delay_alu instid0(VALU_DEP_4) | instskip(NEXT) | instid1(VALU_DEP_4)
	v_fma_f64 v[4:5], v[8:9], v[68:69], v[4:5]
	v_fma_f64 v[6:7], v[164:165], v[12:13], v[6:7]
	s_delay_alu instid0(VALU_DEP_4) | instskip(NEXT) | instid1(VALU_DEP_4)
	v_add_f64_e32 v[14:15], v[74:75], v[0:1]
	v_add_f64_e32 v[8:9], v[0:1], v[2:3]
	v_add_f64_e64 v[16:17], v[0:1], -v[2:3]
	s_delay_alu instid0(VALU_DEP_4)
	v_add_f64_e32 v[10:11], v[4:5], v[6:7]
	v_add_f64_e64 v[12:13], v[4:5], -v[6:7]
	v_add_f64_e32 v[4:5], v[72:73], v[4:5]
	v_add_f64_e32 v[2:3], v[14:15], v[2:3]
	v_fma_f64 v[8:9], v[8:9], -0.5, v[74:75]
	v_fma_f64 v[18:19], v[10:11], -0.5, v[72:73]
	s_delay_alu instid0(VALU_DEP_4) | instskip(NEXT) | instid1(VALU_DEP_3)
	v_add_f64_e32 v[0:1], v[4:5], v[6:7]
	v_fma_f64 v[6:7], v[12:13], s[0:1], v[8:9]
	v_fma_f64 v[10:11], v[12:13], s[8:9], v[8:9]
	s_delay_alu instid0(VALU_DEP_4)
	v_fma_f64 v[8:9], v[16:17], s[0:1], v[18:19]
	v_fma_f64 v[4:5], v[16:17], s[8:9], v[18:19]
	ds_store_b128 v255, v[0:3] offset:4080
	ds_store_b128 v255, v[8:11] offset:8704
	;; [unrolled: 1-line block ×3, first 2 shown]
.LBB0_9:
	s_wait_alu 0xfffe
	s_or_b32 exec_lo, exec_lo, s10
	global_wb scope:SCOPE_SE
	s_wait_storecnt_dscnt 0x0
	s_barrier_signal -1
	s_barrier_wait -1
	global_inv scope:SCOPE_SE
	ds_load_b128 v[0:3], v255
	ds_load_b128 v[4:7], v255 offset:816
	ds_load_b128 v[8:11], v255 offset:1632
	;; [unrolled: 1-line block ×5, first 2 shown]
	s_clause 0x1
	scratch_load_b64 v[24:25], off, off offset:20 th:TH_LOAD_LU
	scratch_load_b128 v[110:113], off, off offset:28 th:TH_LOAD_LU
	s_mov_b32 s0, 0x8b5e3104
	s_mov_b32 s1, 0x3f52e5b8
	s_mul_u64 s[8:9], s[4:5], 0x330
	scratch_load_b128 v[124:127], off, off offset:124 th:TH_LOAD_LU ; 16-byte Folded Reload
	s_wait_loadcnt 0x2
	v_mov_b32_e32 v96, v24
	s_wait_loadcnt_dscnt 0x105
	v_mul_f64_e32 v[70:71], v[112:113], v[2:3]
	v_mul_f64_e32 v[72:73], v[112:113], v[0:1]
	scratch_load_b128 v[112:115], off, off offset:44 th:TH_LOAD_LU ; 16-byte Folded Reload
	v_mad_co_u64_u32 v[68:69], null, s6, v96, 0
	s_wait_loadcnt_dscnt 0x100
	v_mul_f64_e32 v[90:91], v[126:127], v[22:23]
	v_mul_f64_e32 v[92:93], v[126:127], v[20:21]
	s_delay_alu instid0(VALU_DEP_3)
	v_mad_co_u64_u32 v[96:97], null, s7, v96, v[69:70]
	v_fma_f64 v[0:1], v[110:111], v[0:1], v[70:71]
	v_fma_f64 v[2:3], v[110:111], v[2:3], -v[72:73]
	v_fma_f64 v[20:21], v[124:125], v[20:21], v[90:91]
	v_fma_f64 v[22:23], v[124:125], v[22:23], -v[92:93]
	v_mov_b32_e32 v69, v96
	s_delay_alu instid0(VALU_DEP_1) | instskip(NEXT) | instid1(VALU_DEP_1)
	v_lshlrev_b64_e32 v[68:69], 4, v[68:69]
	v_add_co_u32 v110, vcc_lo, s2, v68
	s_wait_alu 0xfffd
	s_delay_alu instid0(VALU_DEP_2)
	v_add_co_ci_u32_e32 v111, vcc_lo, s3, v69, vcc_lo
	s_wait_alu 0xfffe
	v_mul_f64_e32 v[0:1], s[0:1], v[0:1]
	v_mul_f64_e32 v[2:3], s[0:1], v[2:3]
	;; [unrolled: 1-line block ×4, first 2 shown]
	s_wait_loadcnt 0x0
	v_mul_f64_e32 v[74:75], v[114:115], v[6:7]
	v_mul_f64_e32 v[76:77], v[114:115], v[4:5]
	scratch_load_b128 v[114:117], off, off offset:60 th:TH_LOAD_LU ; 16-byte Folded Reload
	v_fma_f64 v[4:5], v[112:113], v[4:5], v[74:75]
	v_fma_f64 v[6:7], v[112:113], v[6:7], -v[76:77]
	s_delay_alu instid0(VALU_DEP_2) | instskip(NEXT) | instid1(VALU_DEP_2)
	v_mul_f64_e32 v[4:5], s[0:1], v[4:5]
	v_mul_f64_e32 v[6:7], s[0:1], v[6:7]
	s_wait_loadcnt 0x0
	v_mul_f64_e32 v[78:79], v[116:117], v[10:11]
	v_mul_f64_e32 v[80:81], v[116:117], v[8:9]
	scratch_load_b128 v[116:119], off, off offset:76 th:TH_LOAD_LU ; 16-byte Folded Reload
	v_fma_f64 v[8:9], v[114:115], v[8:9], v[78:79]
	v_fma_f64 v[10:11], v[114:115], v[10:11], -v[80:81]
	s_delay_alu instid0(VALU_DEP_2) | instskip(NEXT) | instid1(VALU_DEP_2)
	v_mul_f64_e32 v[8:9], s[0:1], v[8:9]
	v_mul_f64_e32 v[10:11], s[0:1], v[10:11]
	s_wait_loadcnt 0x0
	v_mul_f64_e32 v[82:83], v[118:119], v[14:15]
	v_mul_f64_e32 v[84:85], v[118:119], v[12:13]
	scratch_load_b128 v[118:121], off, off offset:92 th:TH_LOAD_LU ; 16-byte Folded Reload
	ds_load_b128 v[24:27], v255 offset:4896
	ds_load_b128 v[28:31], v255 offset:5712
	scratch_load_b32 v98, off, off th:TH_LOAD_LU ; 4-byte Folded Reload
	ds_load_b128 v[32:35], v255 offset:6528
	ds_load_b128 v[36:39], v255 offset:7344
	;; [unrolled: 1-line block ×9, first 2 shown]
	scratch_load_b128 v[126:129], off, off offset:140 th:TH_LOAD_LU ; 16-byte Folded Reload
	v_fma_f64 v[12:13], v[116:117], v[12:13], v[82:83]
	v_fma_f64 v[14:15], v[116:117], v[14:15], -v[84:85]
	s_delay_alu instid0(VALU_DEP_2) | instskip(NEXT) | instid1(VALU_DEP_2)
	v_mul_f64_e32 v[12:13], s[0:1], v[12:13]
	v_mul_f64_e32 v[14:15], s[0:1], v[14:15]
	s_wait_loadcnt 0x2
	v_mul_f64_e32 v[86:87], v[120:121], v[18:19]
	v_mul_f64_e32 v[88:89], v[120:121], v[16:17]
	scratch_load_b128 v[120:123], off, off offset:108 th:TH_LOAD_LU ; 16-byte Folded Reload
	s_wait_loadcnt 0x2
	v_mad_co_u64_u32 v[94:95], null, s4, v98, 0
	s_wait_loadcnt_dscnt 0x109
	v_mul_f64_e32 v[102:103], v[128:129], v[30:31]
	v_mul_f64_e32 v[104:105], v[128:129], v[28:29]
	scratch_load_b128 v[128:131], off, off offset:156 th:TH_LOAD_LU ; 16-byte Folded Reload
	v_mad_co_u64_u32 v[97:98], null, s5, v98, v[95:96]
	s_delay_alu instid0(VALU_DEP_1) | instskip(NEXT) | instid1(VALU_DEP_1)
	v_mov_b32_e32 v95, v97
	v_lshlrev_b64_e32 v[94:95], 4, v[94:95]
	s_delay_alu instid0(VALU_DEP_1) | instskip(SKIP_1) | instid1(VALU_DEP_2)
	v_add_co_u32 v94, vcc_lo, v110, v94
	s_wait_alu 0xfffd
	v_add_co_ci_u32_e32 v95, vcc_lo, v111, v95, vcc_lo
	s_delay_alu instid0(VALU_DEP_2) | instskip(SKIP_1) | instid1(VALU_DEP_2)
	v_add_co_u32 v112, vcc_lo, v94, s8
	s_wait_alu 0xfffd
	v_add_co_ci_u32_e32 v113, vcc_lo, s9, v95, vcc_lo
	v_fma_f64 v[16:17], v[118:119], v[16:17], v[86:87]
	v_fma_f64 v[18:19], v[118:119], v[18:19], -v[88:89]
	v_add_co_u32 v116, vcc_lo, v112, s8
	s_wait_alu 0xfffd
	v_add_co_ci_u32_e32 v117, vcc_lo, s9, v113, vcc_lo
	v_fma_f64 v[28:29], v[126:127], v[28:29], v[102:103]
	v_fma_f64 v[30:31], v[126:127], v[30:31], -v[104:105]
	v_mul_f64_e32 v[16:17], s[0:1], v[16:17]
	v_mul_f64_e32 v[18:19], s[0:1], v[18:19]
	s_wait_loadcnt 0x1
	v_mul_f64_e32 v[98:99], v[122:123], v[26:27]
	v_mul_f64_e32 v[100:101], v[122:123], v[24:25]
	scratch_load_b128 v[122:125], off, off offset:172 th:TH_LOAD_LU ; 16-byte Folded Reload
	s_wait_loadcnt_dscnt 0x108
	v_mul_f64_e32 v[106:107], v[130:131], v[34:35]
	v_mul_f64_e32 v[108:109], v[130:131], v[32:33]
	scratch_load_b128 v[130:133], off, off offset:188 th:TH_LOAD_LU ; 16-byte Folded Reload
	v_fma_f64 v[24:25], v[120:121], v[24:25], v[98:99]
	v_fma_f64 v[26:27], v[120:121], v[26:27], -v[100:101]
	v_add_co_u32 v98, vcc_lo, v116, s8
	s_wait_alu 0xfffd
	v_add_co_ci_u32_e32 v99, vcc_lo, s9, v117, vcc_lo
	v_fma_f64 v[32:33], v[128:129], v[32:33], v[106:107]
	s_delay_alu instid0(VALU_DEP_3) | instskip(SKIP_1) | instid1(VALU_DEP_3)
	v_add_co_u32 v100, vcc_lo, v98, s8
	s_wait_alu 0xfffd
	v_add_co_ci_u32_e32 v101, vcc_lo, s9, v99, vcc_lo
	v_fma_f64 v[34:35], v[128:129], v[34:35], -v[108:109]
	s_wait_loadcnt_dscnt 0x107
	v_mul_f64_e32 v[70:71], v[124:125], v[38:39]
	v_mul_f64_e32 v[72:73], v[124:125], v[36:37]
	s_wait_loadcnt_dscnt 0x6
	v_mul_f64_e32 v[74:75], v[132:133], v[42:43]
	v_mul_f64_e32 v[76:77], v[132:133], v[40:41]
	scratch_load_b128 v[132:135], off, off offset:204 th:TH_LOAD_LU ; 16-byte Folded Reload
	v_fma_f64 v[36:37], v[122:123], v[36:37], v[70:71]
	v_add_co_u32 v70, vcc_lo, v100, s8
	s_wait_alu 0xfffd
	v_add_co_ci_u32_e32 v71, vcc_lo, s9, v101, vcc_lo
	v_fma_f64 v[38:39], v[122:123], v[38:39], -v[72:73]
	v_fma_f64 v[40:41], v[130:131], v[40:41], v[74:75]
	v_fma_f64 v[42:43], v[130:131], v[42:43], -v[76:77]
	s_wait_loadcnt_dscnt 0x5
	v_mul_f64_e32 v[78:79], v[134:135], v[46:47]
	v_mul_f64_e32 v[80:81], v[134:135], v[44:45]
	scratch_load_b128 v[134:137], off, off offset:220 th:TH_LOAD_LU ; 16-byte Folded Reload
	s_wait_loadcnt_dscnt 0x4
	v_mul_f64_e32 v[82:83], v[136:137], v[50:51]
	v_mul_f64_e32 v[84:85], v[136:137], v[48:49]
	scratch_load_b128 v[136:139], off, off offset:236 th:TH_LOAD_LU ; 16-byte Folded Reload
	;; [unrolled: 4-line block ×5, first 2 shown]
	s_clause 0x4
	global_store_b128 v[94:95], v[0:3], off
	global_store_b128 v[112:113], v[4:7], off
	;; [unrolled: 1-line block ×6, first 2 shown]
	v_fma_f64 v[20:21], v[132:133], v[44:45], v[78:79]
	v_fma_f64 v[22:23], v[132:133], v[46:47], -v[80:81]
	v_fma_f64 v[44:45], v[134:135], v[48:49], v[82:83]
	v_fma_f64 v[46:47], v[134:135], v[50:51], -v[84:85]
	;; [unrolled: 2-line block ×4, first 2 shown]
	v_mul_f64_e32 v[0:1], s[0:1], v[24:25]
	v_mul_f64_e32 v[2:3], s[0:1], v[26:27]
	;; [unrolled: 1-line block ×10, first 2 shown]
	v_fma_f64 v[56:57], v[140:141], v[60:61], v[96:97]
	v_fma_f64 v[58:59], v[140:141], v[62:63], -v[68:69]
	v_mul_f64_e32 v[20:21], s[0:1], v[20:21]
	v_mul_f64_e32 v[22:23], s[0:1], v[22:23]
	;; [unrolled: 1-line block ×10, first 2 shown]
	s_wait_loadcnt_dscnt 0x0
	v_mul_f64_e32 v[110:111], v[144:145], v[66:67]
	v_mul_f64_e32 v[114:115], v[144:145], v[64:65]
	s_delay_alu instid0(VALU_DEP_2) | instskip(NEXT) | instid1(VALU_DEP_2)
	v_fma_f64 v[60:61], v[142:143], v[64:65], v[110:111]
	v_fma_f64 v[62:63], v[142:143], v[66:67], -v[114:115]
	v_add_co_u32 v64, vcc_lo, v70, s8
	s_wait_alu 0xfffd
	v_add_co_ci_u32_e32 v65, vcc_lo, s9, v71, vcc_lo
	s_delay_alu instid0(VALU_DEP_2) | instskip(SKIP_1) | instid1(VALU_DEP_2)
	v_add_co_u32 v66, vcc_lo, v64, s8
	s_wait_alu 0xfffd
	v_add_co_ci_u32_e32 v67, vcc_lo, s9, v65, vcc_lo
	global_store_b128 v[64:65], v[0:3], off
	v_add_co_u32 v68, vcc_lo, v66, s8
	s_wait_alu 0xfffd
	v_add_co_ci_u32_e32 v69, vcc_lo, s9, v67, vcc_lo
	global_store_b128 v[66:67], v[4:7], off
	;; [unrolled: 4-line block ×6, first 2 shown]
	v_add_co_u32 v4, vcc_lo, v2, s8
	s_wait_alu 0xfffd
	v_add_co_ci_u32_e32 v5, vcc_lo, s9, v3, vcc_lo
	v_mul_f64_e32 v[40:41], s[0:1], v[60:61]
	v_mul_f64_e32 v[42:43], s[0:1], v[62:63]
	v_add_co_u32 v6, vcc_lo, v4, s8
	s_wait_alu 0xfffd
	v_add_co_ci_u32_e32 v7, vcc_lo, s9, v5, vcc_lo
	s_delay_alu instid0(VALU_DEP_2) | instskip(SKIP_1) | instid1(VALU_DEP_2)
	v_add_co_u32 v8, vcc_lo, v6, s8
	s_wait_alu 0xfffd
	v_add_co_ci_u32_e32 v9, vcc_lo, s9, v7, vcc_lo
	s_delay_alu instid0(VALU_DEP_2) | instskip(SKIP_1) | instid1(VALU_DEP_2)
	v_add_co_u32 v0, vcc_lo, v8, s8
	s_wait_alu 0xfffd
	v_add_co_ci_u32_e32 v1, vcc_lo, s9, v9, vcc_lo
	global_store_b128 v[2:3], v[24:27], off
	global_store_b128 v[4:5], v[28:31], off
	global_store_b128 v[6:7], v[32:35], off
	global_store_b128 v[8:9], v[36:39], off
	global_store_b128 v[0:1], v[40:43], off
.LBB0_10:
	s_nop 0
	s_sendmsg sendmsg(MSG_DEALLOC_VGPRS)
	s_endpgm
	.section	.rodata,"a",@progbits
	.p2align	6, 0x0
	.amdhsa_kernel bluestein_single_back_len867_dim1_dp_op_CI_CI
		.amdhsa_group_segment_fixed_size 13872
		.amdhsa_private_segment_fixed_size 528
		.amdhsa_kernarg_size 104
		.amdhsa_user_sgpr_count 2
		.amdhsa_user_sgpr_dispatch_ptr 0
		.amdhsa_user_sgpr_queue_ptr 0
		.amdhsa_user_sgpr_kernarg_segment_ptr 1
		.amdhsa_user_sgpr_dispatch_id 0
		.amdhsa_user_sgpr_private_segment_size 0
		.amdhsa_wavefront_size32 1
		.amdhsa_uses_dynamic_stack 0
		.amdhsa_enable_private_segment 1
		.amdhsa_system_sgpr_workgroup_id_x 1
		.amdhsa_system_sgpr_workgroup_id_y 0
		.amdhsa_system_sgpr_workgroup_id_z 0
		.amdhsa_system_sgpr_workgroup_info 0
		.amdhsa_system_vgpr_workitem_id 0
		.amdhsa_next_free_vgpr 256
		.amdhsa_next_free_sgpr 60
		.amdhsa_reserve_vcc 1
		.amdhsa_float_round_mode_32 0
		.amdhsa_float_round_mode_16_64 0
		.amdhsa_float_denorm_mode_32 3
		.amdhsa_float_denorm_mode_16_64 3
		.amdhsa_fp16_overflow 0
		.amdhsa_workgroup_processor_mode 1
		.amdhsa_memory_ordered 1
		.amdhsa_forward_progress 0
		.amdhsa_round_robin_scheduling 0
		.amdhsa_exception_fp_ieee_invalid_op 0
		.amdhsa_exception_fp_denorm_src 0
		.amdhsa_exception_fp_ieee_div_zero 0
		.amdhsa_exception_fp_ieee_overflow 0
		.amdhsa_exception_fp_ieee_underflow 0
		.amdhsa_exception_fp_ieee_inexact 0
		.amdhsa_exception_int_div_zero 0
	.end_amdhsa_kernel
	.text
.Lfunc_end0:
	.size	bluestein_single_back_len867_dim1_dp_op_CI_CI, .Lfunc_end0-bluestein_single_back_len867_dim1_dp_op_CI_CI
                                        ; -- End function
	.section	.AMDGPU.csdata,"",@progbits
; Kernel info:
; codeLenInByte = 29848
; NumSgprs: 62
; NumVgprs: 256
; ScratchSize: 528
; MemoryBound: 0
; FloatMode: 240
; IeeeMode: 1
; LDSByteSize: 13872 bytes/workgroup (compile time only)
; SGPRBlocks: 7
; VGPRBlocks: 31
; NumSGPRsForWavesPerEU: 62
; NumVGPRsForWavesPerEU: 256
; Occupancy: 5
; WaveLimiterHint : 1
; COMPUTE_PGM_RSRC2:SCRATCH_EN: 1
; COMPUTE_PGM_RSRC2:USER_SGPR: 2
; COMPUTE_PGM_RSRC2:TRAP_HANDLER: 0
; COMPUTE_PGM_RSRC2:TGID_X_EN: 1
; COMPUTE_PGM_RSRC2:TGID_Y_EN: 0
; COMPUTE_PGM_RSRC2:TGID_Z_EN: 0
; COMPUTE_PGM_RSRC2:TIDIG_COMP_CNT: 0
	.text
	.p2alignl 7, 3214868480
	.fill 96, 4, 3214868480
	.type	__hip_cuid_e84b85cb113b0197,@object ; @__hip_cuid_e84b85cb113b0197
	.section	.bss,"aw",@nobits
	.globl	__hip_cuid_e84b85cb113b0197
__hip_cuid_e84b85cb113b0197:
	.byte	0                               ; 0x0
	.size	__hip_cuid_e84b85cb113b0197, 1

	.ident	"AMD clang version 19.0.0git (https://github.com/RadeonOpenCompute/llvm-project roc-6.4.0 25133 c7fe45cf4b819c5991fe208aaa96edf142730f1d)"
	.section	".note.GNU-stack","",@progbits
	.addrsig
	.addrsig_sym __hip_cuid_e84b85cb113b0197
	.amdgpu_metadata
---
amdhsa.kernels:
  - .args:
      - .actual_access:  read_only
        .address_space:  global
        .offset:         0
        .size:           8
        .value_kind:     global_buffer
      - .actual_access:  read_only
        .address_space:  global
        .offset:         8
        .size:           8
        .value_kind:     global_buffer
      - .actual_access:  read_only
        .address_space:  global
        .offset:         16
        .size:           8
        .value_kind:     global_buffer
      - .actual_access:  read_only
        .address_space:  global
        .offset:         24
        .size:           8
        .value_kind:     global_buffer
      - .actual_access:  read_only
        .address_space:  global
        .offset:         32
        .size:           8
        .value_kind:     global_buffer
      - .offset:         40
        .size:           8
        .value_kind:     by_value
      - .address_space:  global
        .offset:         48
        .size:           8
        .value_kind:     global_buffer
      - .address_space:  global
        .offset:         56
        .size:           8
        .value_kind:     global_buffer
      - .address_space:  global
        .offset:         64
        .size:           8
        .value_kind:     global_buffer
      - .address_space:  global
        .offset:         72
        .size:           8
        .value_kind:     global_buffer
      - .offset:         80
        .size:           4
        .value_kind:     by_value
      - .address_space:  global
        .offset:         88
        .size:           8
        .value_kind:     global_buffer
      - .address_space:  global
        .offset:         96
        .size:           8
        .value_kind:     global_buffer
    .group_segment_fixed_size: 13872
    .kernarg_segment_align: 8
    .kernarg_segment_size: 104
    .language:       OpenCL C
    .language_version:
      - 2
      - 0
    .max_flat_workgroup_size: 51
    .name:           bluestein_single_back_len867_dim1_dp_op_CI_CI
    .private_segment_fixed_size: 528
    .sgpr_count:     62
    .sgpr_spill_count: 0
    .symbol:         bluestein_single_back_len867_dim1_dp_op_CI_CI.kd
    .uniform_work_group_size: 1
    .uses_dynamic_stack: false
    .vgpr_count:     256
    .vgpr_spill_count: 144
    .wavefront_size: 32
    .workgroup_processor_mode: 1
amdhsa.target:   amdgcn-amd-amdhsa--gfx1201
amdhsa.version:
  - 1
  - 2
...

	.end_amdgpu_metadata
